;; amdgpu-corpus repo=ROCm/rocFFT kind=compiled arch=gfx1201 opt=O3
	.text
	.amdgcn_target "amdgcn-amd-amdhsa--gfx1201"
	.amdhsa_code_object_version 6
	.protected	bluestein_single_fwd_len1800_dim1_half_op_CI_CI ; -- Begin function bluestein_single_fwd_len1800_dim1_half_op_CI_CI
	.globl	bluestein_single_fwd_len1800_dim1_half_op_CI_CI
	.p2align	8
	.type	bluestein_single_fwd_len1800_dim1_half_op_CI_CI,@function
bluestein_single_fwd_len1800_dim1_half_op_CI_CI: ; @bluestein_single_fwd_len1800_dim1_half_op_CI_CI
; %bb.0:
	s_load_b128 s[16:19], s[0:1], 0x28
	v_mul_u32_u24_e32 v1, 0x16d, v0
	s_mov_b32 s2, exec_lo
	v_mov_b32_e32 v17, 0
	s_delay_alu instid0(VALU_DEP_2) | instskip(NEXT) | instid1(VALU_DEP_1)
	v_lshrrev_b32_e32 v1, 16, v1
	v_add_nc_u32_e32 v16, ttmp9, v1
	s_wait_kmcnt 0x0
	s_delay_alu instid0(VALU_DEP_1)
	v_cmpx_gt_u64_e64 s[16:17], v[16:17]
	s_cbranch_execz .LBB0_18
; %bb.1:
	s_clause 0x1
	s_load_b128 s[8:11], s[0:1], 0x18
	s_load_b128 s[4:7], s[0:1], 0x0
	v_mul_lo_u16 v1, 0xb4, v1
	s_delay_alu instid0(VALU_DEP_1) | instskip(NEXT) | instid1(VALU_DEP_1)
	v_sub_nc_u16 v0, v0, v1
	v_and_b32_e32 v49, 0xffff, v0
	s_wait_kmcnt 0x0
	s_load_b128 s[12:15], s[8:9], 0x0
	s_wait_kmcnt 0x0
	v_mad_co_u64_u32 v[1:2], null, s14, v16, 0
	v_mad_co_u64_u32 v[3:4], null, s12, v49, 0
	s_mul_u64 s[2:3], s[12:13], 0x2d0
	s_delay_alu instid0(VALU_DEP_1) | instskip(NEXT) | instid1(VALU_DEP_1)
	v_mad_co_u64_u32 v[5:6], null, s15, v16, v[2:3]
	v_mov_b32_e32 v2, v5
	s_delay_alu instid0(VALU_DEP_3) | instskip(SKIP_2) | instid1(VALU_DEP_3)
	v_mad_co_u64_u32 v[6:7], null, s13, v49, v[4:5]
	v_lshlrev_b32_e32 v37, 2, v49
	s_load_b64 s[12:13], s[0:1], 0x38
	v_lshlrev_b64_e32 v[1:2], 2, v[1:2]
	s_delay_alu instid0(VALU_DEP_3)
	v_mov_b32_e32 v4, v6
	s_clause 0x7
	global_load_b32 v52, v37, s[4:5]
	global_load_b32 v53, v37, s[4:5] offset:720
	global_load_b32 v51, v37, s[4:5] offset:1440
	;; [unrolled: 1-line block ×7, first 2 shown]
	v_add_co_u32 v1, vcc_lo, s18, v1
	v_add_co_ci_u32_e32 v2, vcc_lo, s19, v2, vcc_lo
	v_lshlrev_b64_e32 v[3:4], 2, v[3:4]
	s_clause 0x1
	global_load_b32 v38, v37, s[4:5] offset:5760
	global_load_b32 v35, v37, s[4:5] offset:6480
	v_add_nc_u32_e32 v13, 0x500, v37
	v_add_nc_u32_e32 v14, 0x1600, v37
	v_add_co_u32 v1, vcc_lo, v1, v3
	s_wait_alu 0xfffd
	v_add_co_ci_u32_e32 v2, vcc_lo, v2, v4, vcc_lo
	s_delay_alu instid0(VALU_DEP_2) | instskip(SKIP_1) | instid1(VALU_DEP_2)
	v_add_co_u32 v3, vcc_lo, v1, s2
	s_wait_alu 0xfffd
	v_add_co_ci_u32_e32 v4, vcc_lo, s3, v2, vcc_lo
	s_clause 0x1
	global_load_b32 v5, v[1:2], off
	global_load_b32 v6, v[3:4], off
	v_add_co_u32 v1, vcc_lo, v3, s2
	s_wait_alu 0xfffd
	v_add_co_ci_u32_e32 v2, vcc_lo, s3, v4, vcc_lo
	s_delay_alu instid0(VALU_DEP_2) | instskip(SKIP_1) | instid1(VALU_DEP_2)
	v_add_co_u32 v3, vcc_lo, v1, s2
	s_wait_alu 0xfffd
	v_add_co_ci_u32_e32 v4, vcc_lo, s3, v2, vcc_lo
	s_clause 0x1
	global_load_b32 v7, v[1:2], off
	global_load_b32 v8, v[3:4], off
	v_add_co_u32 v1, vcc_lo, v3, s2
	s_wait_alu 0xfffd
	v_add_co_ci_u32_e32 v2, vcc_lo, s3, v4, vcc_lo
	s_delay_alu instid0(VALU_DEP_2) | instskip(SKIP_1) | instid1(VALU_DEP_2)
	v_add_co_u32 v3, vcc_lo, v1, s2
	s_wait_alu 0xfffd
	v_add_co_ci_u32_e32 v4, vcc_lo, s3, v2, vcc_lo
	global_load_b32 v9, v[1:2], off
	v_add_co_u32 v1, vcc_lo, v3, s2
	s_wait_alu 0xfffd
	v_add_co_ci_u32_e32 v2, vcc_lo, s3, v4, vcc_lo
	global_load_b32 v10, v[3:4], off
	v_add_co_u32 v3, vcc_lo, v1, s2
	s_wait_alu 0xfffd
	v_add_co_ci_u32_e32 v4, vcc_lo, s3, v2, vcc_lo
	global_load_b32 v11, v[1:2], off
	v_add_co_u32 v1, vcc_lo, v3, s2
	s_wait_alu 0xfffd
	v_add_co_ci_u32_e32 v2, vcc_lo, s3, v4, vcc_lo
	global_load_b32 v12, v[3:4], off
	v_add_co_u32 v3, vcc_lo, v1, s2
	s_wait_alu 0xfffd
	v_add_co_ci_u32_e32 v4, vcc_lo, s3, v2, vcc_lo
	global_load_b32 v1, v[1:2], off
	global_load_b32 v2, v[3:4], off
	v_add_nc_u32_e32 v3, 0xb00, v37
	v_add_nc_u32_e32 v4, 0x1000, v37
	s_load_b128 s[8:11], s[10:11], 0x0
	v_cmp_gt_u16_e32 vcc_lo, 0x78, v0
	s_wait_loadcnt 0x13
	v_lshrrev_b32_e32 v56, 16, v52
	s_wait_loadcnt 0x12
	v_lshrrev_b32_e32 v55, 16, v53
	;; [unrolled: 2-line block ×11, first 2 shown]
	v_mul_f16_e32 v17, v56, v5
	s_wait_loadcnt 0x8
	v_lshrrev_b32_e32 v19, 16, v6
	v_mul_f16_e32 v20, v55, v6
	v_mul_f16_e32 v18, v56, v15
	v_fma_f16 v15, v52, v15, -v17
	s_delay_alu instid0(VALU_DEP_2)
	v_fmac_f16_e32 v18, v52, v5
	v_mul_f16_e32 v5, v55, v19
	v_fma_f16 v19, v53, v19, -v20
	s_wait_loadcnt 0x7
	v_lshrrev_b32_e32 v17, 16, v7
	v_pack_b32_f16 v15, v18, v15
	v_fmac_f16_e32 v5, v53, v6
	s_wait_loadcnt 0x6
	v_lshrrev_b32_e32 v18, 16, v8
	v_mul_f16_e32 v20, v54, v7
	v_mul_f16_e32 v6, v54, v17
	v_pack_b32_f16 v5, v5, v19
	s_delay_alu instid0(VALU_DEP_3) | instskip(NEXT) | instid1(VALU_DEP_3)
	v_fma_f16 v17, v51, v17, -v20
	v_fmac_f16_e32 v6, v51, v7
	v_mul_f16_e32 v7, v50, v18
	s_wait_loadcnt 0x5
	v_lshrrev_b32_e32 v19, 16, v9
	v_mul_f16_e32 v20, v50, v8
	v_mul_f16_e32 v21, v47, v9
	v_pack_b32_f16 v6, v6, v17
	v_fmac_f16_e32 v7, v48, v8
	v_mul_f16_e32 v8, v47, v19
	v_fma_f16 v18, v48, v18, -v20
	v_fma_f16 v17, v46, v19, -v21
	s_wait_loadcnt 0x4
	v_lshrrev_b32_e32 v19, 16, v10
	v_mul_f16_e32 v20, v45, v10
	v_fmac_f16_e32 v8, v46, v9
	s_wait_loadcnt 0x3
	v_lshrrev_b32_e32 v9, 16, v11
	v_pack_b32_f16 v7, v7, v18
	v_mul_f16_e32 v18, v45, v19
	v_fma_f16 v19, v44, v19, -v20
	v_mul_f16_e32 v20, v43, v11
	v_pack_b32_f16 v8, v8, v17
	v_mul_f16_e32 v17, v43, v9
	v_fmac_f16_e32 v18, v44, v10
	s_wait_loadcnt 0x2
	v_lshrrev_b32_e32 v10, 16, v12
	v_fma_f16 v9, v42, v9, -v20
	v_mul_f16_e32 v20, v41, v12
	v_fmac_f16_e32 v17, v42, v11
	s_wait_loadcnt 0x1
	v_lshrrev_b32_e32 v11, 16, v1
	s_wait_loadcnt 0x0
	v_lshrrev_b32_e32 v22, 16, v2
	v_mul_f16_e32 v21, v41, v10
	v_fma_f16 v10, v40, v10, -v20
	v_mul_f16_e32 v20, v39, v1
	v_mul_f16_e32 v23, v39, v11
	;; [unrolled: 1-line block ×4, first 2 shown]
	v_fmac_f16_e32 v21, v40, v12
	v_fma_f16 v11, v38, v11, -v20
	v_fmac_f16_e32 v23, v38, v1
	v_fma_f16 v1, v35, v22, -v24
	v_fmac_f16_e32 v25, v35, v2
	v_pack_b32_f16 v2, v18, v19
	v_pack_b32_f16 v9, v17, v9
	;; [unrolled: 1-line block ×5, first 2 shown]
	ds_store_2addr_b32 v37, v15, v5 offset1:180
	ds_store_2addr_b32 v13, v6, v7 offset0:40 offset1:220
	ds_store_2addr_b32 v3, v8, v2 offset0:16 offset1:196
	ds_store_2addr_b32 v4, v9, v10 offset0:56 offset1:236
	ds_store_2addr_b32 v14, v11, v1 offset0:32 offset1:212
	global_wb scope:SCOPE_SE
	s_wait_dscnt 0x0
	s_wait_kmcnt 0x0
	s_barrier_signal -1
	s_barrier_wait -1
	global_inv scope:SCOPE_SE
	ds_load_2addr_b32 v[1:2], v3 offset0:16 offset1:196
	ds_load_2addr_b32 v[3:4], v4 offset0:56 offset1:236
	;; [unrolled: 1-line block ×4, first 2 shown]
	ds_load_2addr_b32 v[9:10], v37 offset1:180
	v_mul_lo_u16 v11, v0, 10
	global_wb scope:SCOPE_SE
	s_wait_dscnt 0x0
	s_barrier_signal -1
	s_barrier_wait -1
	global_inv scope:SCOPE_SE
	v_and_b32_e32 v11, 0xffff, v11
	s_delay_alu instid0(VALU_DEP_1)
	v_lshlrev_b32_e32 v57, 2, v11
	v_lshrrev_b32_e32 v14, 16, v1
	v_add_f16_e32 v11, v1, v3
	v_lshrrev_b32_e32 v12, 16, v5
	v_lshrrev_b32_e32 v13, 16, v7
	;; [unrolled: 1-line block ×3, first 2 shown]
	v_sub_f16_e32 v17, v7, v3
	v_sub_f16_e32 v18, v5, v1
	v_add_f16_e32 v19, v5, v7
	v_sub_f16_e32 v20, v3, v7
	v_sub_f16_e32 v21, v1, v5
	v_pk_add_f16 v22, v9, v5
	v_add_f16_e32 v25, v2, v4
	v_lshrrev_b32_e32 v26, 16, v6
	v_lshrrev_b32_e32 v27, 16, v8
	;; [unrolled: 1-line block ×4, first 2 shown]
	v_add_f16_e32 v32, v6, v8
	v_pk_add_f16 v58, v10, v6
	v_lshrrev_b32_e32 v23, 16, v9
	v_sub_f16_e32 v24, v1, v3
	v_sub_f16_e32 v31, v6, v2
	;; [unrolled: 1-line block ×3, first 2 shown]
	v_lshrrev_b32_e32 v59, 16, v10
	v_sub_f16_e32 v60, v2, v4
	v_fma_f16 v11, -0.5, v11, v9
	v_sub_f16_e32 v61, v12, v13
	v_sub_f16_e32 v62, v14, v15
	v_add_f16_e32 v17, v18, v17
	v_fma_f16 v9, -0.5, v19, v9
	v_add_f16_e32 v18, v21, v20
	v_pk_add_f16 v1, v22, v1
	v_add_f16_e32 v19, v14, v15
	v_sub_f16_e32 v20, v12, v14
	v_sub_f16_e32 v21, v13, v15
	v_add_f16_e32 v22, v12, v13
	v_sub_f16_e32 v12, v14, v12
	v_sub_f16_e32 v13, v15, v13
	v_fma_f16 v14, -0.5, v25, v10
	v_sub_f16_e32 v15, v26, v27
	v_sub_f16_e32 v25, v28, v29
	v_fma_f16 v10, -0.5, v32, v10
	v_pk_add_f16 v2, v58, v2
	v_add_f16_e32 v32, v28, v29
	v_add_f16_e32 v58, v26, v27
	v_sub_f16_e32 v30, v8, v4
	v_sub_f16_e32 v33, v4, v8
	;; [unrolled: 1-line block ×3, first 2 shown]
	v_pk_add_f16 v1, v1, v3
	v_fma_f16 v3, -0.5, v19, v23
	v_add_f16_e32 v19, v20, v21
	v_add_f16_e32 v12, v12, v13
	v_fmamk_f16 v13, v15, 0x3b9c, v14
	v_fmamk_f16 v20, v25, 0xbb9c, v10
	v_fmac_f16_e32 v10, 0x3b9c, v25
	v_pk_add_f16 v2, v2, v4
	v_fma_f16 v21, -0.5, v32, v59
	v_fmac_f16_e32 v59, -0.5, v58
	v_sub_f16_e32 v5, v5, v7
	v_add_f16_e32 v30, v31, v30
	v_add_f16_e32 v31, v34, v33
	v_sub_f16_e32 v33, v26, v28
	v_sub_f16_e32 v34, v27, v29
	;; [unrolled: 1-line block ×4, first 2 shown]
	v_fmamk_f16 v28, v61, 0x3b9c, v11
	v_fmac_f16_e32 v11, 0xbb9c, v61
	v_fmac_f16_e32 v14, 0xbb9c, v15
	;; [unrolled: 1-line block ×5, first 2 shown]
	v_pk_add_f16 v2, v2, v8
	v_fmamk_f16 v8, v6, 0xbb9c, v21
	v_fmamk_f16 v15, v60, 0x3b9c, v59
	v_fmac_f16_e32 v59, 0xbb9c, v60
	v_fmac_f16_e32 v23, -0.5, v22
	v_fmac_f16_e32 v21, 0x3b9c, v6
	v_fmamk_f16 v29, v62, 0xbb9c, v9
	v_fmac_f16_e32 v9, 0x3b9c, v62
	v_add_f16_e32 v22, v33, v34
	v_add_f16_e32 v26, v26, v27
	v_fmac_f16_e32 v28, 0x38b4, v62
	v_fmac_f16_e32 v11, 0xb8b4, v62
	v_pk_add_f16 v4, v1, v7
	v_fmamk_f16 v7, v5, 0xbb9c, v3
	v_fmac_f16_e32 v3, 0x3b9c, v5
	v_fmac_f16_e32 v14, 0xb8b4, v25
	;; [unrolled: 1-line block ×6, first 2 shown]
	v_fmamk_f16 v27, v24, 0x3b9c, v23
	v_fmac_f16_e32 v23, 0xbb9c, v24
	v_fmac_f16_e32 v21, 0x38b4, v60
	;; [unrolled: 1-line block ×11, first 2 shown]
	v_pk_add_f16 v1, v4, v2
	v_pk_add_f16 v4, v4, v2 neg_lo:[0,1] neg_hi:[0,1]
	v_fmac_f16_e32 v8, 0x34f2, v22
	v_fmac_f16_e32 v15, 0x34f2, v26
	;; [unrolled: 1-line block ×3, first 2 shown]
	v_mul_f16_e32 v2, 0x3a79, v13
	v_mul_f16_e32 v17, 0xb8b4, v13
	v_fmac_f16_e32 v27, 0xb8b4, v5
	v_fmac_f16_e32 v23, 0x38b4, v5
	;; [unrolled: 1-line block ×7, first 2 shown]
	v_mul_f16_e32 v5, 0x34f2, v10
	v_mul_f16_e32 v6, 0x3a79, v14
	v_mul_f16_e32 v18, 0xbb9c, v20
	v_fmac_f16_e32 v2, 0x38b4, v8
	v_mul_f16_e32 v19, 0x3b9c, v15
	v_fmac_f16_e32 v17, 0x3a79, v8
	v_mul_f16_e32 v8, 0x34f2, v59
	v_fmac_f16_e32 v27, 0x34f2, v12
	v_fmac_f16_e32 v23, 0x34f2, v12
	v_mul_f16_e32 v12, 0x3a79, v21
	v_fma_f16 v5, v59, 0x3b9c, -v5
	v_fma_f16 v6, v21, 0x38b4, -v6
	v_fmac_f16_e32 v18, 0x34f2, v15
	v_fmac_f16_e32 v19, 0x34f2, v20
	v_fma_f16 v10, v10, 0xbb9c, -v8
	v_fma_f16 v26, v14, 0xb8b4, -v12
	v_add_f16_e32 v21, v28, v2
	v_add_f16_e32 v20, v9, v5
	;; [unrolled: 1-line block ×5, first 2 shown]
	v_sub_f16_e32 v12, v9, v5
	v_sub_f16_e32 v13, v11, v6
	;; [unrolled: 1-line block ×3, first 2 shown]
	v_add_f16_e32 v6, v29, v19
	v_add_f16_e32 v7, v23, v10
	v_sub_f16_e32 v8, v28, v2
	v_sub_f16_e32 v15, v27, v18
	v_add_f16_e32 v17, v3, v26
	v_sub_f16_e32 v14, v29, v19
	v_sub_f16_e32 v18, v23, v10
	;; [unrolled: 1-line block ×3, first 2 shown]
	v_pack_b32_f16 v2, v21, v24
	v_pack_b32_f16 v11, v20, v7
	;; [unrolled: 1-line block ×8, first 2 shown]
	ds_store_2addr_b64 v57, v[1:2], v[10:11] offset1:1
	ds_store_2addr_b64 v57, v[3:4], v[5:6] offset0:2 offset1:3
	ds_store_b64 v57, v[20:21] offset:32
	global_wb scope:SCOPE_SE
	s_wait_dscnt 0x0
	s_barrier_signal -1
	s_barrier_wait -1
	global_inv scope:SCOPE_SE
	ds_load_b32 v11, v37
	ds_load_b32 v26, v37 offset:1200
	ds_load_b32 v25, v37 offset:2400
	ds_load_b32 v24, v37 offset:3600
	ds_load_b32 v22, v37 offset:4800
	ds_load_b32 v21, v37 offset:6000
                                        ; implicit-def: $vgpr20
                                        ; implicit-def: $vgpr27
                                        ; implicit-def: $vgpr23
                                        ; implicit-def: $vgpr28
	s_and_saveexec_b32 s0, vcc_lo
	s_cbranch_execz .LBB0_3
; %bb.2:
	ds_load_b32 v8, v37 offset:720
	ds_load_b32 v14, v37 offset:1920
	;; [unrolled: 1-line block ×6, first 2 shown]
	s_wait_dscnt 0x5
	v_lshrrev_b32_e32 v9, 16, v8
	s_wait_dscnt 0x4
	v_lshrrev_b32_e32 v15, 16, v14
	;; [unrolled: 2-line block ×6, first 2 shown]
.LBB0_3:
	s_wait_alu 0xfffe
	s_or_b32 exec_lo, exec_lo, s0
	v_and_b32_e32 v10, 0xff, v49
	v_add_co_u32 v17, null, 0xb4, v49
	s_wait_dscnt 0x2
	v_lshrrev_b32_e32 v34, 16, v24
	s_wait_dscnt 0x1
	v_lshrrev_b32_e32 v63, 16, v22
	v_mul_lo_u16 v0, 0xcd, v10
	s_wait_dscnt 0x0
	v_lshrrev_b32_e32 v64, 16, v21
	v_lshrrev_b32_e32 v33, 16, v11
	s_delay_alu instid0(VALU_DEP_3) | instskip(SKIP_1) | instid1(VALU_DEP_2)
	v_lshrrev_b16 v31, 11, v0
	v_and_b32_e32 v0, 0xffff, v17
	v_mul_lo_u16 v1, v31, 10
	s_delay_alu instid0(VALU_DEP_2) | instskip(NEXT) | instid1(VALU_DEP_2)
	v_mul_u32_u24_e32 v0, 0xcccd, v0
	v_sub_nc_u16 v1, v49, v1
	s_delay_alu instid0(VALU_DEP_2) | instskip(NEXT) | instid1(VALU_DEP_2)
	v_lshrrev_b32_e32 v58, 19, v0
	v_and_b32_e32 v32, 0xff, v1
	s_delay_alu instid0(VALU_DEP_2) | instskip(NEXT) | instid1(VALU_DEP_2)
	v_mul_lo_u16 v2, v58, 10
	v_mad_co_u64_u32 v[0:1], null, v32, 20, s[6:7]
	s_delay_alu instid0(VALU_DEP_2) | instskip(NEXT) | instid1(VALU_DEP_1)
	v_sub_nc_u16 v59, v17, v2
	v_mul_lo_u16 v2, v59, 20
	s_clause 0x1
	global_load_b128 v[4:7], v[0:1], off
	global_load_b32 v62, v[0:1], off offset:16
	v_and_b32_e32 v2, 0xffff, v2
	s_delay_alu instid0(VALU_DEP_1)
	v_add_co_u32 v29, s0, s6, v2
	s_wait_alu 0xf1ff
	v_add_co_ci_u32_e64 v30, null, s7, 0, s0
	s_clause 0x1
	global_load_b128 v[0:3], v[29:30], off
	global_load_b32 v61, v[29:30], off offset:16
	v_and_b32_e32 v29, 0xffff, v31
	v_lshrrev_b32_e32 v30, 16, v26
	v_lshrrev_b32_e32 v31, 16, v25
	global_wb scope:SCOPE_SE
	s_wait_loadcnt 0x0
	s_barrier_signal -1
	v_mul_u32_u24_e32 v29, 60, v29
	s_barrier_wait -1
	global_inv scope:SCOPE_SE
	v_add_lshl_u32 v60, v29, v32, 2
	v_lshrrev_b32_e32 v74, 16, v4
	v_lshrrev_b32_e32 v73, 16, v5
	;; [unrolled: 1-line block ×5, first 2 shown]
	v_mul_f16_e32 v29, v30, v74
	v_mul_f16_e32 v32, v26, v74
	;; [unrolled: 1-line block ×10, first 2 shown]
	v_lshrrev_b32_e32 v70, 16, v0
	v_lshrrev_b32_e32 v68, 16, v1
	;; [unrolled: 1-line block ×5, first 2 shown]
	v_fma_f16 v29, v26, v4, -v29
	v_fmac_f16_e32 v32, v30, v4
	v_fma_f16 v30, v25, v5, -v75
	v_fmac_f16_e32 v76, v31, v5
	;; [unrolled: 2-line block ×5, first 2 shown]
	v_mul_f16_e32 v21, v14, v70
	v_mul_f16_e32 v75, v18, v68
	;; [unrolled: 1-line block ×10, first 2 shown]
	v_add_f16_e32 v83, v11, v30
	v_sub_f16_e32 v85, v76, v80
	v_add_f16_e32 v86, v33, v76
	v_add_f16_e32 v76, v76, v80
	v_add_f16_e32 v87, v29, v31
	v_add_f16_e32 v88, v31, v63
	v_sub_f16_e32 v89, v78, v82
	v_add_f16_e32 v90, v32, v78
	v_add_f16_e32 v78, v78, v82
	v_fmac_f16_e32 v21, v15, v0
	v_fma_f16 v15, v12, v1, -v75
	v_fmac_f16_e32 v25, v18, v1
	v_fma_f16 v18, v13, v2, -v77
	;; [unrolled: 2-line block ×4, first 2 shown]
	v_fmac_f16_e32 v24, v28, v61
	v_add_f16_e32 v84, v30, v34
	v_sub_f16_e32 v30, v30, v34
	v_sub_f16_e32 v31, v31, v63
	v_fma_f16 v14, v14, v0, -v64
	v_add_f16_e32 v19, v83, v34
	v_add_f16_e32 v20, v86, v80
	v_fmac_f16_e32 v33, -0.5, v76
	v_add_f16_e32 v23, v87, v63
	v_fmac_f16_e32 v29, -0.5, v88
	;; [unrolled: 2-line block ×3, first 2 shown]
	v_add_f16_e32 v28, v15, v12
	v_add_f16_e32 v63, v25, v22
	;; [unrolled: 1-line block ×4, first 2 shown]
	v_fmac_f16_e32 v11, -0.5, v84
	v_sub_f16_e32 v34, v25, v22
	v_sub_f16_e32 v64, v15, v12
	v_sub_f16_e32 v76, v26, v24
	v_sub_f16_e32 v78, v18, v13
	v_fmamk_f16 v80, v30, 0xbaee, v33
	v_fmac_f16_e32 v33, 0x3aee, v30
	v_fmamk_f16 v30, v89, 0x3aee, v29
	v_fmamk_f16 v81, v31, 0xbaee, v32
	v_fmac_f16_e32 v32, 0x3aee, v31
	v_add_f16_e32 v31, v19, v23
	v_add_f16_e32 v82, v20, v27
	v_sub_f16_e32 v83, v19, v23
	v_sub_f16_e32 v20, v20, v27
	v_fma_f16 v19, -0.5, v28, v8
	v_fma_f16 v23, -0.5, v63, v9
	;; [unrolled: 1-line block ×4, first 2 shown]
	v_fmac_f16_e32 v29, 0xbaee, v89
	v_fmamk_f16 v79, v85, 0x3aee, v11
	v_fmac_f16_e32 v11, 0xbaee, v85
	v_mul_f16_e32 v77, 0x3aee, v81
	v_mul_f16_e32 v85, 0xbaee, v30
	v_mul_f16_e32 v86, -0.5, v32
	v_pack_b32_f16 v83, v83, v20
	v_fmamk_f16 v20, v34, 0x3aee, v19
	v_fmac_f16_e32 v19, 0xbaee, v34
	v_fmamk_f16 v27, v64, 0xbaee, v23
	v_fmac_f16_e32 v23, 0x3aee, v64
	;; [unrolled: 2-line block ×4, first 2 shown]
	v_mul_f16_e32 v84, -0.5, v29
	v_pack_b32_f16 v82, v31, v82
	v_fmac_f16_e32 v77, 0.5, v30
	v_fmac_f16_e32 v85, 0.5, v81
	v_fmac_f16_e32 v86, 0xbaee, v29
	v_mul_f16_e32 v28, 0x3aee, v64
	v_mul_f16_e32 v29, -0.5, v63
	v_mul_f16_e32 v30, 0xbaee, v34
	v_mul_f16_e32 v31, -0.5, v75
	v_fmac_f16_e32 v84, 0x3aee, v32
	v_add_f16_e32 v32, v79, v77
	v_add_f16_e32 v78, v80, v85
	v_fmac_f16_e32 v28, 0.5, v34
	v_fmac_f16_e32 v29, 0x3aee, v75
	v_fmac_f16_e32 v30, 0.5, v64
	v_fmac_f16_e32 v31, 0xbaee, v63
	v_add_f16_e32 v76, v11, v84
	v_add_f16_e32 v81, v33, v86
	v_sub_f16_e32 v77, v79, v77
	v_sub_f16_e32 v11, v11, v84
	;; [unrolled: 1-line block ×4, first 2 shown]
	v_pack_b32_f16 v32, v32, v78
	v_sub_f16_e32 v90, v20, v28
	v_sub_f16_e32 v91, v19, v29
	;; [unrolled: 1-line block ×4, first 2 shown]
	v_pack_b32_f16 v34, v76, v81
	v_pack_b32_f16 v63, v77, v79
	v_pack_b32_f16 v11, v11, v33
	ds_store_2addr_b32 v60, v82, v32 offset1:10
	ds_store_2addr_b32 v60, v34, v83 offset0:20 offset1:30
	ds_store_2addr_b32 v60, v63, v11 offset0:40 offset1:50
	s_and_saveexec_b32 s0, vcc_lo
	s_cbranch_execz .LBB0_5
; %bb.4:
	v_add_f16_e32 v9, v9, v25
	v_add_f16_e32 v11, v21, v26
	;; [unrolled: 1-line block ×4, first 2 shown]
	v_mad_u16 v18, v58, 60, v59
	v_add_f16_e32 v9, v9, v22
	v_add_f16_e32 v11, v11, v24
	;; [unrolled: 1-line block ×6, first 2 shown]
	v_sub_f16_e32 v13, v9, v11
	v_add_f16_e32 v9, v9, v11
	v_and_b32_e32 v11, 0xffff, v18
	v_add_f16_e32 v18, v8, v12
	v_add_f16_e32 v15, v23, v31
	;; [unrolled: 1-line block ×3, first 2 shown]
	v_sub_f16_e32 v8, v8, v12
	v_lshlrev_b32_e32 v11, 2, v11
	v_pack_b32_f16 v9, v18, v9
	v_pack_b32_f16 v12, v20, v14
	;; [unrolled: 1-line block ×4, first 2 shown]
	v_perm_b32 v13, v92, v90, 0x5040100
	v_perm_b32 v15, v93, v91, 0x5040100
	ds_store_2addr_b32 v11, v9, v12 offset1:10
	ds_store_2addr_b32 v11, v14, v8 offset0:20 offset1:30
	ds_store_2addr_b32 v11, v13, v15 offset0:40 offset1:50
.LBB0_5:
	s_wait_alu 0xfffe
	s_or_b32 exec_lo, exec_lo, s0
	v_mul_lo_u16 v8, 0x89, v10
	global_wb scope:SCOPE_SE
	s_wait_dscnt 0x0
	s_barrier_signal -1
	s_barrier_wait -1
	global_inv scope:SCOPE_SE
	v_lshrrev_b16 v28, 13, v8
	v_add_nc_u32_e32 v20, 0x500, v37
	v_add_nc_u32_e32 v22, 0xb00, v37
	;; [unrolled: 1-line block ×4, first 2 shown]
	v_mul_lo_u16 v8, v28, 60
	v_and_b32_e32 v28, 0xffff, v28
	v_add_nc_u32_e32 v31, 0x580, v37
	v_add_nc_u32_e32 v32, 0x1200, v37
	;; [unrolled: 1-line block ×3, first 2 shown]
	v_sub_nc_u16 v8, v49, v8
	v_mul_u32_u24_e32 v28, 0x258, v28
	s_delay_alu instid0(VALU_DEP_2) | instskip(NEXT) | instid1(VALU_DEP_1)
	v_and_b32_e32 v29, 0xff, v8
	v_mad_co_u64_u32 v[18:19], null, v29, 36, s[6:7]
	s_delay_alu instid0(VALU_DEP_3)
	v_add_lshl_u32 v63, v28, v29, 2
	s_clause 0x2
	global_load_b128 v[12:15], v[18:19], off offset:200
	global_load_b128 v[8:11], v[18:19], off offset:216
	global_load_b32 v64, v[18:19], off offset:232
	ds_load_2addr_b32 v[18:19], v37 offset1:180
	ds_load_2addr_b32 v[20:21], v20 offset0:40 offset1:220
	ds_load_2addr_b32 v[22:23], v22 offset0:16 offset1:196
	;; [unrolled: 1-line block ×4, first 2 shown]
	v_add_nc_u32_e32 v80, 0x200, v63
	v_add_nc_u32_e32 v97, 0x400, v63
	;; [unrolled: 1-line block ×3, first 2 shown]
	global_wb scope:SCOPE_SE
	s_wait_loadcnt_dscnt 0x0
	s_barrier_signal -1
	s_barrier_wait -1
	global_inv scope:SCOPE_SE
	v_lshrrev_b32_e32 v76, 16, v22
	v_lshrrev_b32_e32 v33, 16, v19
	;; [unrolled: 1-line block ×19, first 2 shown]
	v_mul_f16_e32 v95, v33, v89
	v_mul_f16_e32 v96, v19, v89
	;; [unrolled: 1-line block ×18, first 2 shown]
	v_fma_f16 v19, v19, v12, -v95
	v_fmac_f16_e32 v96, v33, v12
	v_fma_f16 v20, v20, v13, -v99
	v_fmac_f16_e32 v100, v34, v13
	;; [unrolled: 2-line block ×9, first 2 shown]
	v_add_f16_e32 v28, v18, v20
	v_add_f16_e32 v29, v22, v24
	v_sub_f16_e32 v75, v20, v22
	v_sub_f16_e32 v76, v26, v24
	;; [unrolled: 1-line block ×4, first 2 shown]
	v_add_f16_e32 v95, v30, v100
	v_sub_f16_e32 v103, v100, v104
	v_sub_f16_e32 v105, v112, v108
	v_add_f16_e32 v111, v19, v21
	v_add_f16_e32 v113, v23, v25
	;; [unrolled: 1-line block ×6, first 2 shown]
	v_sub_f16_e32 v33, v100, v112
	v_sub_f16_e32 v34, v104, v108
	v_add_f16_e32 v77, v20, v26
	v_add_f16_e32 v99, v104, v108
	v_sub_f16_e32 v101, v22, v24
	v_add_f16_e32 v107, v100, v112
	v_sub_f16_e32 v100, v104, v100
	v_sub_f16_e32 v115, v102, v114
	;; [unrolled: 1-line block ×6, first 2 shown]
	v_add_f16_e32 v22, v28, v22
	v_fma_f16 v28, -0.5, v29, v18
	v_add_f16_e32 v29, v75, v76
	v_add_f16_e32 v75, v78, v79
	;; [unrolled: 1-line block ×5, first 2 shown]
	v_fma_f16 v95, -0.5, v113, v19
	v_add_f16_e32 v103, v122, v106
	v_fma_f16 v104, -0.5, v123, v96
	v_sub_f16_e32 v109, v108, v112
	v_sub_f16_e32 v116, v106, v110
	v_fmac_f16_e32 v19, -0.5, v119
	v_fmac_f16_e32 v96, -0.5, v127
	v_sub_f16_e32 v118, v27, v25
	v_sub_f16_e32 v121, v25, v27
	;; [unrolled: 1-line block ×4, first 2 shown]
	v_sub_f16_e64 v128, v110, v114
	v_fmac_f16_e32 v18, -0.5, v77
	v_fma_f16 v77, -0.5, v99, v30
	v_fmac_f16_e32 v30, -0.5, v107
	v_add_f16_e32 v23, v23, v25
	v_fmamk_f16 v25, v115, 0x3b9c, v95
	v_add_f16_e32 v103, v103, v110
	v_fmamk_f16 v110, v21, 0xbb9c, v104
	v_sub_f16_e32 v102, v106, v102
	v_add_f16_e32 v79, v100, v109
	v_fmamk_f16 v109, v116, 0xbb9c, v19
	v_fmac_f16_e32 v19, 0x3b9c, v116
	v_fmamk_f16 v111, v124, 0x3b9c, v96
	v_fmac_f16_e32 v96, 0xbb9c, v124
	v_sub_f16_e32 v20, v20, v26
	v_fmac_f16_e32 v95, 0xbb9c, v115
	v_fmac_f16_e32 v104, 0x3b9c, v21
	v_add_f16_e32 v99, v117, v118
	v_add_f16_e32 v105, v125, v126
	;; [unrolled: 1-line block ×4, first 2 shown]
	v_fmamk_f16 v108, v101, 0x3b9c, v30
	v_fmac_f16_e32 v30, 0xbb9c, v101
	v_fmac_f16_e32 v25, 0x38b4, v116
	;; [unrolled: 1-line block ×3, first 2 shown]
	v_add_f16_e32 v100, v120, v121
	v_add_f16_e64 v102, v102, v128
	v_fmamk_f16 v24, v33, 0x3b9c, v28
	v_fmac_f16_e32 v28, 0xbb9c, v33
	v_fmamk_f16 v106, v34, 0xbb9c, v18
	v_fmac_f16_e32 v18, 0x3b9c, v34
	v_fmac_f16_e32 v109, 0x38b4, v115
	;; [unrolled: 1-line block ×5, first 2 shown]
	v_fmamk_f16 v107, v20, 0xbb9c, v77
	v_fmac_f16_e32 v77, 0x3b9c, v20
	v_fmac_f16_e32 v95, 0xb8b4, v116
	;; [unrolled: 1-line block ×3, first 2 shown]
	v_add_f16_e32 v22, v22, v26
	v_add_f16_e32 v26, v76, v112
	v_fmac_f16_e32 v108, 0xb8b4, v20
	v_fmac_f16_e32 v30, 0x38b4, v20
	v_add_f16_e32 v20, v23, v27
	v_add_f16_e32 v23, v103, v114
	v_fmac_f16_e32 v25, 0x34f2, v99
	v_fmac_f16_e32 v110, 0x34f2, v105
	;; [unrolled: 1-line block ×14, first 2 shown]
	v_add_f16_e32 v21, v22, v20
	v_add_f16_e32 v27, v26, v23
	v_sub_f16_e32 v20, v22, v20
	v_sub_f16_e32 v22, v26, v23
	v_mul_f16_e32 v23, 0x38b4, v110
	v_mul_f16_e32 v34, 0xb8b4, v25
	v_fmac_f16_e32 v24, 0x34f2, v29
	v_fmac_f16_e32 v28, 0x34f2, v29
	;; [unrolled: 1-line block ×4, first 2 shown]
	v_mul_f16_e32 v26, 0x3b9c, v111
	v_mul_f16_e32 v29, 0x34f2, v19
	;; [unrolled: 1-line block ×4, first 2 shown]
	v_fmac_f16_e32 v107, 0x34f2, v78
	v_fmac_f16_e32 v77, 0x34f2, v78
	v_mul_f16_e32 v33, 0x3a79, v95
	v_mul_f16_e32 v78, 0x3a79, v104
	v_fmac_f16_e32 v23, 0x3a79, v25
	v_fmac_f16_e32 v34, 0x3a79, v110
	;; [unrolled: 1-line block ×4, first 2 shown]
	v_pack_b32_f16 v20, v20, v22
	v_fmac_f16_e32 v26, 0x34f2, v109
	v_fma_f16 v22, v96, 0x3b9c, -v29
	v_fmac_f16_e32 v75, 0x34f2, v111
	v_fma_f16 v19, v19, 0xbb9c, -v76
	v_pack_b32_f16 v21, v21, v27
	v_fma_f16 v25, v104, 0x38b4, -v33
	v_fma_f16 v27, v95, 0xb8b4, -v78
	v_add_f16_e32 v29, v24, v23
	v_add_f16_e32 v79, v107, v34
	;; [unrolled: 1-line block ×8, first 2 shown]
	v_sub_f16_e32 v23, v24, v23
	v_sub_f16_e32 v24, v106, v26
	;; [unrolled: 1-line block ×8, first 2 shown]
	v_pack_b32_f16 v26, v29, v79
	v_pack_b32_f16 v27, v33, v99
	;; [unrolled: 1-line block ×8, first 2 shown]
	ds_store_2addr_b32 v63, v21, v26 offset1:60
	ds_store_2addr_b32 v63, v27, v28 offset0:120 offset1:180
	ds_store_2addr_b32 v80, v29, v20 offset0:112 offset1:172
	;; [unrolled: 1-line block ×4, first 2 shown]
	global_wb scope:SCOPE_SE
	s_wait_dscnt 0x0
	s_barrier_signal -1
	s_barrier_wait -1
	global_inv scope:SCOPE_SE
	ds_load_2addr_b32 v[29:30], v37 offset1:180
	ds_load_2addr_b32 v[27:28], v31 offset0:8 offset1:248
	ds_load_2addr_b32 v[33:34], v32 offset0:48 offset1:228
	;; [unrolled: 1-line block ×3, first 2 shown]
	ds_load_b32 v97, v37 offset:6240
	v_add_co_u32 v25, s0, s4, v37
	s_wait_alu 0xf1ff
	v_add_co_ci_u32_e64 v26, null, s5, 0, s0
	v_cmp_gt_u16_e64 s0, 60, v49
	s_delay_alu instid0(VALU_DEP_1)
	s_and_saveexec_b32 s1, s0
	s_cbranch_execz .LBB0_7
; %bb.6:
	ds_load_b32 v95, v37 offset:2160
	ds_load_b32 v90, v37 offset:4560
	;; [unrolled: 1-line block ×3, first 2 shown]
	s_wait_dscnt 0x2
	v_lshrrev_b32_e32 v96, 16, v95
	s_wait_dscnt 0x1
	v_lshrrev_b32_e32 v92, 16, v90
	;; [unrolled: 2-line block ×3, first 2 shown]
.LBB0_7:
	s_wait_alu 0xfffe
	s_or_b32 exec_lo, exec_lo, s1
	v_lshlrev_b32_e32 v18, 3, v49
	v_lshlrev_b32_e32 v17, 3, v17
	s_wait_dscnt 0x3
	v_lshrrev_b32_e32 v99, 16, v28
	s_wait_dscnt 0x2
	v_lshrrev_b32_e32 v100, 16, v33
	;; [unrolled: 2-line block ×3, first 2 shown]
	s_clause 0x1
	global_load_b64 v[23:24], v18, s[6:7] offset:2360
	global_load_b64 v[19:20], v17, s[6:7] offset:2360
	v_add_nc_u32_e32 v17, 0xb40, v18
	v_lshrrev_b32_e32 v103, 16, v34
	v_lshrrev_b32_e32 v105, 16, v32
	s_wait_dscnt 0x0
	v_lshrrev_b32_e32 v106, 16, v97
	v_lshrrev_b32_e32 v98, 16, v29
	global_load_b64 v[21:22], v17, s[6:7] offset:2360
	v_add_co_u32 v17, s1, 0x21c, v49
	s_wait_alu 0xf1ff
	v_add_co_ci_u32_e64 v18, null, 0, 0, s1
	v_add_co_u32 v75, s1, 0xffffffc4, v49
	s_wait_alu 0xf1ff
	v_add_co_ci_u32_e64 v76, null, 0, -1, s1
	v_lshrrev_b32_e32 v101, 16, v30
	s_delay_alu instid0(VALU_DEP_3) | instskip(SKIP_1) | instid1(VALU_DEP_4)
	v_cndmask_b32_e64 v17, v75, v17, s0
	v_lshrrev_b32_e32 v104, 16, v27
	v_cndmask_b32_e64 v18, v76, v18, s0
	s_delay_alu instid0(VALU_DEP_1) | instskip(NEXT) | instid1(VALU_DEP_1)
	v_lshlrev_b64_e32 v[17:18], 3, v[17:18]
	v_add_co_u32 v17, s1, s6, v17
	s_wait_alu 0xf1ff
	s_delay_alu instid0(VALU_DEP_2)
	v_add_co_ci_u32_e64 v18, s1, s7, v18, s1
	global_load_b64 v[17:18], v[17:18], off offset:2360
	s_wait_loadcnt 0x3
	v_lshrrev_b32_e32 v80, 16, v23
	v_lshrrev_b32_e32 v79, 16, v24
	s_wait_loadcnt 0x2
	v_lshrrev_b32_e32 v78, 16, v19
	v_lshrrev_b32_e32 v76, 16, v20
	v_mul_f16_e32 v107, v99, v80
	v_mul_f16_e32 v108, v28, v80
	v_mul_f16_e32 v109, v100, v79
	v_mul_f16_e32 v110, v33, v79
	v_mul_f16_e32 v111, v102, v78
	v_mul_f16_e32 v112, v31, v78
	v_mul_f16_e32 v113, v103, v76
	v_mul_f16_e32 v114, v34, v76
	s_wait_loadcnt 0x1
	v_lshrrev_b32_e32 v77, 16, v21
	v_lshrrev_b32_e32 v75, 16, v22
	v_fma_f16 v28, v28, v23, -v107
	v_fmac_f16_e32 v108, v99, v23
	v_fma_f16 v33, v33, v24, -v109
	v_fmac_f16_e32 v110, v100, v24
	;; [unrolled: 2-line block ×3, first 2 shown]
	v_fma_f16 v34, v34, v20, -v113
	v_mul_f16_e32 v99, v105, v77
	v_mul_f16_e32 v100, v32, v77
	v_mul_f16_e32 v102, v106, v75
	v_mul_f16_e32 v107, v97, v75
	v_fmac_f16_e32 v114, v103, v20
	v_fma_f16 v32, v32, v21, -v99
	v_fmac_f16_e32 v100, v105, v21
	v_fma_f16 v97, v97, v22, -v102
	v_fmac_f16_e32 v107, v106, v22
	v_add_f16_e32 v99, v29, v28
	v_add_f16_e32 v102, v28, v33
	v_sub_f16_e32 v103, v108, v110
	v_add_f16_e32 v105, v98, v108
	v_add_f16_e32 v106, v108, v110
	v_sub_f16_e32 v108, v28, v33
	;; [unrolled: 3-line block ×4, first 2 shown]
	s_wait_loadcnt 0x0
	v_lshrrev_b32_e32 v31, 16, v17
	v_lshrrev_b32_e32 v28, 16, v18
	v_add_f16_e32 v99, v99, v33
	v_fma_f16 v29, -0.5, v102, v29
	v_add_f16_e32 v102, v105, v110
	v_fmac_f16_e32 v98, -0.5, v106
	v_add_f16_e32 v105, v109, v34
	v_fmac_f16_e32 v30, -0.5, v111
	;; [unrolled: 2-line block ×3, first 2 shown]
	v_mul_f16_e32 v114, v92, v31
	v_mul_f16_e32 v34, v90, v31
	;; [unrolled: 1-line block ×4, first 2 shown]
	v_add_f16_e32 v110, v32, v97
	v_sub_f16_e32 v111, v100, v107
	v_add_f16_e32 v112, v104, v100
	v_add_f16_e32 v100, v100, v107
	v_fmamk_f16 v117, v103, 0x3aee, v29
	v_fmac_f16_e32 v29, 0xbaee, v103
	v_fmamk_f16 v103, v108, 0xbaee, v98
	v_fmac_f16_e32 v98, 0x3aee, v108
	;; [unrolled: 2-line block ×4, first 2 shown]
	v_fma_f16 v90, v90, v17, -v114
	v_fmac_f16_e32 v34, v92, v17
	v_fma_f16 v91, v91, v18, -v115
	v_fmac_f16_e32 v33, v93, v18
	v_add_f16_e32 v109, v27, v32
	v_sub_f16_e32 v32, v32, v97
	v_fmac_f16_e32 v27, -0.5, v110
	v_fmac_f16_e32 v104, -0.5, v100
	v_pack_b32_f16 v98, v29, v98
	v_pack_b32_f16 v101, v30, v101
	v_add_f16_e32 v29, v90, v91
	v_add_f16_e32 v30, v34, v33
	v_pack_b32_f16 v100, v105, v106
	v_fmamk_f16 v92, v111, 0x3aee, v27
	v_fmac_f16_e32 v27, 0xbaee, v111
	v_fmamk_f16 v93, v32, 0xbaee, v104
	v_fmac_f16_e32 v104, 0x3aee, v32
	v_pack_b32_f16 v32, v117, v103
	v_sub_f16_e32 v103, v34, v33
	v_sub_f16_e32 v105, v90, v91
	v_fma_f16 v29, -0.5, v29, v95
	v_fma_f16 v30, -0.5, v30, v96
	v_add_f16_e32 v97, v109, v97
	v_add_f16_e32 v107, v112, v107
	v_pack_b32_f16 v99, v99, v102
	ds_store_b32 v37, v32 offset:2400
	ds_store_b32 v37, v98 offset:4800
	v_pack_b32_f16 v92, v92, v93
	v_pack_b32_f16 v93, v27, v104
	v_fmamk_f16 v27, v103, 0x3aee, v29
	v_fmac_f16_e32 v29, 0xbaee, v103
	v_fmamk_f16 v32, v105, 0xbaee, v30
	v_fmac_f16_e32 v30, 0x3aee, v105
	v_pack_b32_f16 v97, v97, v107
	v_pack_b32_f16 v102, v108, v113
	ds_store_2addr_b32 v37, v99, v100 offset1:180
	ds_store_b32 v37, v101 offset:5520
	ds_store_b32 v37, v97 offset:1440
	ds_store_2addr_b32 v94, v102, v92 offset0:12 offset1:192
	ds_store_b32 v37, v93 offset:6240
	s_and_saveexec_b32 s1, s0
	s_cbranch_execz .LBB0_9
; %bb.8:
	v_add_f16_e32 v34, v96, v34
	v_add_f16_e32 v90, v95, v90
	s_delay_alu instid0(VALU_DEP_2) | instskip(NEXT) | instid1(VALU_DEP_2)
	v_add_f16_e32 v33, v34, v33
	v_add_f16_e32 v34, v90, v91
	v_perm_b32 v90, v30, v29, 0x5040100
	s_delay_alu instid0(VALU_DEP_2)
	v_pack_b32_f16 v33, v34, v33
	v_perm_b32 v34, v32, v27, 0x5040100
	ds_store_b32 v37, v33 offset:2160
	ds_store_b32 v37, v34 offset:4560
	;; [unrolled: 1-line block ×3, first 2 shown]
.LBB0_9:
	s_wait_alu 0xfffe
	s_or_b32 exec_lo, exec_lo, s1
	s_add_nc_u64 s[2:3], s[4:5], 0x1c20
	global_wb scope:SCOPE_SE
	s_wait_dscnt 0x0
	s_barrier_signal -1
	s_barrier_wait -1
	global_inv scope:SCOPE_SE
	s_clause 0x9
	global_load_b32 v33, v[25:26], off offset:7200
	global_load_b32 v34, v37, s[2:3] offset:720
	global_load_b32 v94, v37, s[2:3] offset:1440
	;; [unrolled: 1-line block ×9, first 2 shown]
	ds_load_2addr_b32 v[25:26], v37 offset1:180
	v_add_nc_u32_e32 v104, 0x1000, v37
	v_add_nc_u32_e32 v105, 0x1600, v37
	s_wait_dscnt 0x0
	v_lshrrev_b32_e32 v90, 16, v25
	v_lshrrev_b32_e32 v92, 16, v26
	s_wait_loadcnt 0x9
	v_lshrrev_b32_e32 v91, 16, v33
	s_wait_loadcnt 0x8
	;; [unrolled: 2-line block ×5, first 2 shown]
	v_lshrrev_b32_e32 v108, 16, v96
	v_mul_f16_e32 v102, v90, v91
	v_mul_f16_e32 v91, v25, v91
	;; [unrolled: 1-line block ×4, first 2 shown]
	s_wait_loadcnt 0x4
	v_lshrrev_b32_e32 v109, 16, v97
	v_fma_f16 v25, v25, v33, -v102
	v_fmac_f16_e32 v91, v90, v33
	v_fma_f16 v26, v26, v34, -v103
	v_fmac_f16_e32 v93, v92, v34
	v_add_nc_u32_e32 v102, 0x500, v37
	v_add_nc_u32_e32 v103, 0xb00, v37
	v_pack_b32_f16 v25, v25, v91
	s_wait_loadcnt 0x3
	v_lshrrev_b32_e32 v110, 16, v98
	v_pack_b32_f16 v26, v26, v93
	s_wait_loadcnt 0x2
	v_lshrrev_b32_e32 v111, 16, v99
	s_wait_loadcnt 0x1
	v_lshrrev_b32_e32 v112, 16, v100
	;; [unrolled: 2-line block ×3, first 2 shown]
	ds_store_2addr_b32 v37, v25, v26 offset1:180
	ds_load_2addr_b32 v[25:26], v102 offset0:40 offset1:220
	ds_load_2addr_b32 v[33:34], v103 offset0:16 offset1:196
	;; [unrolled: 1-line block ×4, first 2 shown]
	s_wait_dscnt 0x3
	v_lshrrev_b32_e32 v114, 16, v25
	v_lshrrev_b32_e32 v116, 16, v26
	s_wait_dscnt 0x2
	v_lshrrev_b32_e32 v118, 16, v33
	v_lshrrev_b32_e32 v120, 16, v34
	;; [unrolled: 3-line block ×4, first 2 shown]
	v_mul_f16_e32 v115, v25, v106
	v_mul_f16_e32 v117, v26, v107
	;; [unrolled: 1-line block ×13, first 2 shown]
	v_mul_f16_e64 v129, v93, v113
	v_mul_f16_e32 v112, v126, v112
	v_mul_f16_e64 v113, v128, v113
	v_fmac_f16_e32 v115, v114, v94
	v_fmac_f16_e32 v117, v116, v95
	v_fma_f16 v25, v25, v94, -v106
	v_fma_f16 v26, v26, v95, -v107
	v_fmac_f16_e32 v119, v118, v96
	v_fmac_f16_e32 v121, v120, v97
	v_fma_f16 v33, v33, v96, -v108
	v_fma_f16 v34, v34, v97, -v109
	;; [unrolled: 4-line block ×3, first 2 shown]
	v_fmac_f16_e32 v127, v126, v100
	v_fmac_f16_e64 v129, v128, v101
	v_fma_f16 v92, v92, v100, -v112
	v_fma_f16 v93, v93, v101, -v113
	v_pack_b32_f16 v25, v25, v115
	v_pack_b32_f16 v26, v26, v117
	;; [unrolled: 1-line block ×8, first 2 shown]
	ds_store_2addr_b32 v102, v25, v26 offset0:40 offset1:220
	ds_store_2addr_b32 v103, v33, v34 offset0:16 offset1:196
	;; [unrolled: 1-line block ×4, first 2 shown]
	global_wb scope:SCOPE_SE
	s_wait_dscnt 0x0
	s_barrier_signal -1
	s_barrier_wait -1
	global_inv scope:SCOPE_SE
	ds_load_2addr_b32 v[25:26], v103 offset0:16 offset1:196
	ds_load_2addr_b32 v[33:34], v104 offset0:56 offset1:236
	;; [unrolled: 1-line block ×4, first 2 shown]
	ds_load_2addr_b32 v[94:95], v37 offset1:180
	global_wb scope:SCOPE_SE
	s_wait_dscnt 0x0
	s_barrier_signal -1
	s_barrier_wait -1
	global_inv scope:SCOPE_SE
	v_lshrrev_b32_e32 v99, 16, v25
	v_add_f16_e32 v96, v25, v33
	v_lshrrev_b32_e32 v97, 16, v90
	v_lshrrev_b32_e32 v98, 16, v92
	;; [unrolled: 1-line block ×3, first 2 shown]
	v_sub_f16_e32 v101, v92, v33
	v_sub_f16_e32 v102, v90, v25
	v_add_f16_e32 v103, v90, v92
	v_sub_f16_e32 v104, v33, v92
	v_sub_f16_e32 v105, v25, v90
	v_pk_add_f16 v106, v94, v90
	v_add_f16_e32 v109, v26, v34
	v_lshrrev_b32_e32 v110, 16, v91
	v_lshrrev_b32_e32 v111, 16, v93
	;; [unrolled: 1-line block ×4, first 2 shown]
	v_sub_f16_e32 v114, v93, v34
	v_sub_f16_e32 v115, v91, v26
	v_add_f16_e32 v116, v91, v93
	v_pk_add_f16 v119, v95, v91
	v_lshrrev_b32_e32 v107, 16, v94
	v_sub_f16_e32 v108, v25, v33
	v_sub_f16_e32 v118, v26, v91
	v_lshrrev_b32_e32 v120, 16, v95
	v_sub_f16_e32 v121, v26, v34
	v_fma_f16 v96, -0.5, v96, v94
	v_sub_f16_e32 v122, v97, v98
	v_sub_f16_e32 v123, v99, v100
	v_add_f16_e32 v101, v102, v101
	v_fma_f16 v94, -0.5, v103, v94
	v_add_f16_e32 v102, v105, v104
	v_pk_add_f16 v25, v106, v25
	v_add_f16_e32 v103, v99, v100
	v_sub_f16_e32 v104, v97, v99
	v_sub_f16_e32 v105, v98, v100
	v_add_f16_e32 v106, v97, v98
	v_sub_f16_e32 v97, v99, v97
	v_sub_f16_e32 v98, v100, v98
	v_fma_f16 v99, -0.5, v109, v95
	v_sub_f16_e32 v100, v110, v111
	v_sub_f16_e32 v109, v112, v113
	v_add_f16_e32 v114, v115, v114
	v_fma_f16 v115, -0.5, v116, v95
	v_pk_add_f16 v26, v119, v26
	v_add_f16_e32 v116, v112, v113
	v_add_f16_e32 v119, v110, v111
	v_sub_f16_e32 v117, v34, v93
	v_sub_f16_e32 v91, v91, v93
	v_pk_add_f16 v25, v25, v33
	v_add_f16_e32 v33, v104, v105
	v_fmamk_f16 v104, v100, 0xbb9c, v99
	v_fmamk_f16 v105, v109, 0x3b9c, v115
	v_fmac_f16_e32 v115, 0xbb9c, v109
	v_pk_add_f16 v26, v26, v34
	v_fma_f16 v34, -0.5, v116, v120
	v_fmac_f16_e32 v120, -0.5, v119
	v_add_f16_e32 v95, v118, v117
	v_sub_f16_e32 v117, v110, v112
	v_sub_f16_e32 v118, v111, v113
	;; [unrolled: 1-line block ×4, first 2 shown]
	v_fma_f16 v103, -0.5, v103, v107
	v_fmac_f16_e32 v107, -0.5, v106
	v_fmac_f16_e32 v99, 0x3b9c, v100
	v_fmac_f16_e32 v104, 0xb8b4, v109
	;; [unrolled: 1-line block ×4, first 2 shown]
	v_pk_add_f16 v26, v26, v93
	v_fmamk_f16 v93, v91, 0x3b9c, v34
	v_fmamk_f16 v100, v121, 0xbb9c, v120
	v_fmac_f16_e32 v120, 0x3b9c, v121
	v_fmac_f16_e32 v34, 0xbb9c, v91
	v_sub_f16_e32 v90, v90, v92
	v_add_f16_e32 v106, v117, v118
	v_add_f16_e32 v110, v110, v111
	v_pk_add_f16 v25, v25, v92
	v_fmamk_f16 v111, v108, 0xbb9c, v107
	v_fmac_f16_e32 v107, 0x3b9c, v108
	v_fmac_f16_e32 v104, 0x34f2, v114
	;; [unrolled: 1-line block ×5, first 2 shown]
	v_fmamk_f16 v112, v122, 0xbb9c, v96
	v_fmac_f16_e32 v96, 0x3b9c, v122
	v_fmamk_f16 v113, v123, 0x3b9c, v94
	v_fmac_f16_e32 v94, 0xbb9c, v123
	v_fmac_f16_e32 v34, 0xb8b4, v121
	v_add_f16_e32 v97, v97, v98
	v_fmamk_f16 v92, v90, 0x3b9c, v103
	v_fmac_f16_e32 v111, 0x38b4, v90
	v_fmac_f16_e32 v107, 0xb8b4, v90
	;; [unrolled: 1-line block ×4, first 2 shown]
	v_pk_add_f16 v95, v25, v26
	v_pk_add_f16 v98, v25, v26 neg_lo:[0,1] neg_hi:[0,1]
	v_fmac_f16_e32 v93, 0x34f2, v106
	v_fmac_f16_e32 v100, 0x34f2, v110
	;; [unrolled: 1-line block ×3, first 2 shown]
	v_mul_f16_e32 v25, 0x38b4, v104
	v_fmac_f16_e32 v112, 0xb8b4, v123
	v_fmac_f16_e32 v96, 0x38b4, v123
	;; [unrolled: 1-line block ×10, first 2 shown]
	v_mul_f16_e32 v26, 0xb8b4, v93
	v_mul_f16_e32 v90, 0xbb9c, v100
	v_mul_f16_e32 v97, 0xbb9c, v120
	v_fmac_f16_e32 v25, 0x3a79, v93
	v_mul_f16_e32 v93, 0x34f2, v100
	v_mul_f16_e32 v100, 0xb4f2, v120
	v_fmac_f16_e32 v112, 0x34f2, v101
	v_fmac_f16_e32 v96, 0x34f2, v101
	;; [unrolled: 1-line block ×6, first 2 shown]
	v_mul_f16_e32 v101, 0xb8b4, v34
	v_mul_f16_e32 v102, 0xba79, v34
	v_fmac_f16_e32 v92, 0x34f2, v33
	v_fmac_f16_e32 v26, 0x3a79, v104
	;; [unrolled: 1-line block ×9, first 2 shown]
	v_add_f16_e32 v104, v92, v25
	v_sub_f16_e32 v34, v92, v25
	v_add_f16_e32 v25, v112, v26
	v_add_f16_e32 v99, v113, v90
	;; [unrolled: 1-line block ×7, first 2 shown]
	v_sub_f16_e32 v33, v112, v26
	v_sub_f16_e32 v91, v113, v90
	;; [unrolled: 1-line block ×7, first 2 shown]
	v_pack_b32_f16 v100, v105, v109
	v_pack_b32_f16 v99, v99, v108
	;; [unrolled: 1-line block ×8, first 2 shown]
	ds_store_2addr_b64 v57, v[95:96], v[99:100] offset1:1
	ds_store_2addr_b64 v57, v[97:98], v[101:102] offset0:2 offset1:3
	ds_store_b64 v57, v[103:104] offset:32
	global_wb scope:SCOPE_SE
	s_wait_dscnt 0x0
	s_barrier_signal -1
	s_barrier_wait -1
	global_inv scope:SCOPE_SE
	ds_load_b32 v25, v37
	ds_load_b32 v98, v37 offset:1200
	ds_load_b32 v97, v37 offset:2400
	;; [unrolled: 1-line block ×5, first 2 shown]
	s_and_saveexec_b32 s1, vcc_lo
	s_cbranch_execz .LBB0_11
; %bb.10:
	ds_load_b32 v33, v37 offset:720
	ds_load_b32 v91, v37 offset:1920
	;; [unrolled: 1-line block ×6, first 2 shown]
	s_wait_dscnt 0x5
	v_lshrrev_b32_e32 v34, 16, v33
	s_wait_dscnt 0x4
	v_lshrrev_b32_e32 v94, 16, v91
	;; [unrolled: 2-line block ×6, first 2 shown]
.LBB0_11:
	s_wait_alu 0xfffe
	s_or_b32 exec_lo, exec_lo, s1
	s_wait_dscnt 0x4
	v_lshrrev_b32_e32 v99, 16, v98
	s_wait_dscnt 0x3
	v_lshrrev_b32_e32 v101, 16, v97
	;; [unrolled: 2-line block ×5, first 2 shown]
	v_mul_f16_e32 v104, v74, v99
	v_mul_f16_e32 v74, v74, v98
	;; [unrolled: 1-line block ×4, first 2 shown]
	v_lshrrev_b32_e32 v100, 16, v25
	v_fmac_f16_e32 v104, v4, v98
	v_fma_f16 v74, v4, v99, -v74
	v_mul_f16_e32 v98, v72, v102
	v_fmac_f16_e32 v106, v5, v97
	v_mul_f16_e32 v4, v72, v96
	v_fma_f16 v72, v5, v101, -v73
	v_mul_f16_e32 v73, v71, v103
	v_mul_f16_e32 v5, v71, v95
	v_fmac_f16_e32 v98, v6, v96
	v_fma_f16 v71, v6, v102, -v4
	v_mul_f16_e32 v96, v69, v105
	v_fmac_f16_e32 v73, v7, v95
	v_mul_f16_e32 v6, v69, v57
	v_fma_f16 v69, v7, v103, -v5
	v_mul_f16_e32 v4, v70, v94
	v_mul_f16_e32 v7, v70, v91
	;; [unrolled: 8-line block ×3, first 2 shown]
	v_fmac_f16_e32 v5, v1, v90
	v_mul_f16_e32 v67, v67, v26
	v_fma_f16 v57, v1, v93, -v57
	v_fmac_f16_e32 v6, v2, v26
	v_mul_f16_e32 v26, v66, v27
	v_mul_f16_e32 v1, v65, v30
	v_fmac_f16_e32 v0, v3, v27
	v_add_f16_e32 v27, v106, v73
	v_add_f16_e32 v66, v74, v71
	v_fma_f16 v3, v3, v32, -v26
	v_mul_f16_e32 v26, v65, v29
	v_fmac_f16_e32 v1, v61, v29
	v_add_f16_e32 v29, v25, v106
	v_fmac_f16_e32 v25, -0.5, v27
	v_sub_f16_e32 v27, v72, v69
	v_fma_f16 v30, v61, v30, -v26
	v_add_f16_e32 v26, v100, v72
	v_add_f16_e32 v32, v72, v69
	;; [unrolled: 1-line block ×3, first 2 shown]
	v_fmamk_f16 v61, v27, 0xbaee, v25
	v_fmac_f16_e32 v25, 0x3aee, v27
	v_add_f16_e32 v27, v71, v62
	v_add_f16_e32 v26, v26, v69
	v_fmac_f16_e32 v100, -0.5, v32
	v_sub_f16_e32 v32, v106, v73
	v_add_f16_e32 v68, v104, v98
	v_fmac_f16_e32 v74, -0.5, v27
	v_sub_f16_e32 v27, v98, v96
	v_fmac_f16_e32 v104, -0.5, v65
	v_sub_f16_e32 v65, v71, v62
	v_fma_f16 v2, v2, v92, -v67
	v_add_f16_e32 v29, v29, v73
	v_fmamk_f16 v69, v27, 0x3aee, v74
	v_fmac_f16_e32 v74, 0xbaee, v27
	v_fmamk_f16 v67, v32, 0x3aee, v100
	v_fmac_f16_e32 v100, 0xbaee, v32
	v_add_f16_e32 v27, v68, v96
	v_fmamk_f16 v32, v65, 0xbaee, v104
	v_mul_f16_e32 v68, 0xbaee, v69
	v_fmac_f16_e32 v104, 0x3aee, v65
	v_mul_f16_e32 v65, 0xbaee, v74
	v_add_f16_e32 v62, v66, v62
	v_mul_f16_e32 v66, 0.5, v69
	v_fmac_f16_e32 v68, 0.5, v32
	v_mul_f16_e32 v70, -0.5, v74
	v_fmac_f16_e32 v65, -0.5, v104
	v_add_f16_e32 v71, v29, v27
	v_fmac_f16_e32 v66, 0x3aee, v32
	v_add_f16_e32 v74, v26, v62
	v_add_f16_e32 v32, v5, v0
	v_sub_f16_e32 v92, v29, v27
	v_sub_f16_e32 v95, v26, v62
	v_add_f16_e32 v26, v57, v3
	v_add_f16_e32 v27, v2, v30
	;; [unrolled: 1-line block ×4, first 2 shown]
	v_sub_f16_e32 v94, v25, v65
	v_fma_f16 v32, -0.5, v32, v33
	v_sub_f16_e32 v25, v57, v3
	v_sub_f16_e32 v96, v67, v66
	v_add_f16_e32 v29, v6, v1
	v_fma_f16 v66, -0.5, v26, v34
	v_fma_f16 v26, -0.5, v27, v7
	v_sub_f16_e32 v27, v6, v1
	v_add_f16_e32 v72, v61, v68
	v_sub_f16_e32 v93, v61, v68
	v_fmamk_f16 v61, v25, 0xbaee, v32
	v_fma_f16 v29, -0.5, v29, v4
	v_sub_f16_e32 v62, v2, v30
	v_fmac_f16_e32 v32, 0x3aee, v25
	v_fmamk_f16 v25, v27, 0x3aee, v26
	v_fmac_f16_e32 v26, 0xbaee, v27
	v_sub_f16_e32 v97, v5, v0
	v_fmamk_f16 v27, v62, 0xbaee, v29
	v_fmac_f16_e32 v29, 0x3aee, v62
	v_mul_f16_e32 v62, 0xbaee, v25
	v_mul_f16_e32 v67, 0xbaee, v26
	v_mul_f16_e32 v68, 0.5, v25
	v_mul_f16_e32 v69, -0.5, v26
	v_fmac_f16_e32 v70, 0x3aee, v104
	v_fmamk_f16 v65, v97, 0x3aee, v66
	v_fmac_f16_e32 v66, 0xbaee, v97
	v_fmac_f16_e32 v62, 0.5, v27
	v_fmac_f16_e32 v67, -0.5, v29
	v_fmac_f16_e32 v68, 0x3aee, v27
	v_fmac_f16_e32 v69, 0x3aee, v29
	v_add_f16_e32 v91, v100, v70
	v_sub_f16_e32 v70, v100, v70
	v_sub_f16_e32 v25, v61, v62
	;; [unrolled: 1-line block ×5, first 2 shown]
	v_pack_b32_f16 v71, v71, v74
	v_pack_b32_f16 v72, v72, v90
	;; [unrolled: 1-line block ×6, first 2 shown]
	global_wb scope:SCOPE_SE
	s_barrier_signal -1
	s_barrier_wait -1
	global_inv scope:SCOPE_SE
	ds_store_2addr_b32 v60, v71, v72 offset1:10
	ds_store_2addr_b32 v60, v73, v74 offset0:20 offset1:30
	ds_store_2addr_b32 v60, v90, v70 offset0:40 offset1:50
	s_and_saveexec_b32 s1, vcc_lo
	s_cbranch_execz .LBB0_13
; %bb.12:
	v_add_f16_e32 v34, v34, v57
	v_add_f16_e32 v2, v7, v2
	;; [unrolled: 1-line block ×4, first 2 shown]
	v_mad_u16 v7, v58, 60, v59
	v_add_f16_e32 v3, v34, v3
	v_add_f16_e32 v2, v2, v30
	;; [unrolled: 1-line block ×6, first 2 shown]
	v_sub_f16_e32 v4, v3, v2
	v_add_f16_e32 v2, v3, v2
	v_and_b32_e32 v3, 0xffff, v7
	v_add_f16_e32 v7, v0, v1
	v_add_f16_e32 v6, v66, v69
	;; [unrolled: 1-line block ×3, first 2 shown]
	v_sub_f16_e32 v0, v0, v1
	v_lshlrev_b32_e32 v1, 2, v3
	v_pack_b32_f16 v2, v7, v2
	v_pack_b32_f16 v3, v30, v5
	;; [unrolled: 1-line block ×4, first 2 shown]
	v_perm_b32 v4, v27, v25, 0x5040100
	v_perm_b32 v6, v29, v26, 0x5040100
	ds_store_2addr_b32 v1, v2, v3 offset1:10
	ds_store_2addr_b32 v1, v5, v0 offset0:20 offset1:30
	ds_store_2addr_b32 v1, v4, v6 offset0:40 offset1:50
.LBB0_13:
	s_wait_alu 0xfffe
	s_or_b32 exec_lo, exec_lo, s1
	v_add_nc_u32_e32 v2, 0x500, v37
	global_wb scope:SCOPE_SE
	s_wait_dscnt 0x0
	s_barrier_signal -1
	s_barrier_wait -1
	global_inv scope:SCOPE_SE
	ds_load_2addr_b32 v[0:1], v37 offset1:180
	ds_load_2addr_b32 v[2:3], v2 offset0:40 offset1:220
	v_add_nc_u32_e32 v4, 0xb00, v37
	v_add_nc_u32_e32 v6, 0x1000, v37
	;; [unrolled: 1-line block ×3, first 2 shown]
	ds_load_2addr_b32 v[4:5], v4 offset0:16 offset1:196
	ds_load_2addr_b32 v[6:7], v6 offset0:56 offset1:236
	;; [unrolled: 1-line block ×3, first 2 shown]
	global_wb scope:SCOPE_SE
	s_wait_dscnt 0x0
	s_barrier_signal -1
	s_barrier_wait -1
	global_inv scope:SCOPE_SE
	v_lshrrev_b32_e32 v34, 16, v1
	v_mul_f16_e32 v57, v89, v1
	v_lshrrev_b32_e32 v58, 16, v2
	v_lshrrev_b32_e32 v59, 16, v3
	v_mul_f16_e32 v69, v88, v3
	v_lshrrev_b32_e32 v61, 16, v5
	v_mul_f16_e32 v68, v89, v34
	v_fma_f16 v34, v12, v34, -v57
	v_mul_f16_e32 v57, v87, v2
	v_mul_f16_e32 v71, v87, v58
	;; [unrolled: 1-line block ×3, first 2 shown]
	v_lshrrev_b32_e32 v60, 16, v4
	v_lshrrev_b32_e32 v62, 16, v6
	;; [unrolled: 1-line block ×3, first 2 shown]
	v_fmac_f16_e32 v68, v12, v1
	v_fma_f16 v1, v13, v58, -v57
	v_fmac_f16_e32 v71, v13, v2
	v_fmac_f16_e32 v72, v14, v3
	v_mul_f16_e32 v3, v85, v61
	v_mul_f16_e32 v13, v85, v5
	v_lshrrev_b32_e32 v65, 16, v7
	v_mul_f16_e32 v70, v86, v4
	v_mul_f16_e32 v12, v86, v60
	v_fma_f16 v2, v14, v59, -v69
	v_mul_f16_e32 v14, v84, v62
	v_fmac_f16_e32 v3, v8, v5
	v_fma_f16 v8, v8, v61, -v13
	v_mul_f16_e32 v13, v82, v66
	v_lshrrev_b32_e32 v67, 16, v33
	v_fmac_f16_e32 v12, v15, v4
	v_fma_f16 v4, v15, v60, -v70
	v_mul_f16_e32 v5, v84, v6
	v_mul_f16_e32 v15, v83, v65
	v_fmac_f16_e32 v14, v9, v6
	v_mul_f16_e32 v6, v82, v32
	v_fmac_f16_e32 v13, v11, v32
	v_fma_f16 v5, v9, v62, -v5
	v_fmac_f16_e32 v15, v10, v7
	v_mul_f16_e32 v7, v83, v7
	v_add_f16_e32 v9, v12, v14
	v_fma_f16 v6, v11, v66, -v6
	v_mul_f16_e32 v57, v81, v67
	v_add_f16_e32 v58, v0, v71
	v_add_f16_e32 v61, v71, v13
	v_lshrrev_b32_e32 v30, 16, v0
	v_fma_f16 v9, -0.5, v9, v0
	v_sub_f16_e32 v59, v1, v6
	v_fma_f16 v7, v10, v65, -v7
	v_fmac_f16_e32 v57, v64, v33
	v_add_f16_e32 v10, v58, v12
	v_sub_f16_e32 v32, v4, v5
	v_sub_f16_e32 v58, v71, v12
	;; [unrolled: 1-line block ×3, first 2 shown]
	v_mul_f16_e32 v33, v81, v33
	v_fmac_f16_e32 v0, -0.5, v61
	v_fmamk_f16 v11, v59, 0xbb9c, v9
	v_fmac_f16_e32 v9, 0x3b9c, v59
	v_add_f16_e32 v58, v58, v60
	v_fma_f16 v33, v64, v67, -v33
	v_fmamk_f16 v60, v32, 0x3b9c, v0
	v_add_f16_e32 v64, v30, v1
	v_fmac_f16_e32 v0, 0xbb9c, v32
	v_fmac_f16_e32 v11, 0xb8b4, v32
	v_sub_f16_e32 v61, v12, v71
	v_sub_f16_e32 v62, v14, v13
	v_fmac_f16_e32 v9, 0x38b4, v32
	v_add_f16_e32 v65, v4, v5
	v_fmac_f16_e32 v60, 0xb8b4, v59
	v_add_f16_e32 v32, v64, v4
	;; [unrolled: 2-line block ×3, first 2 shown]
	v_add_f16_e32 v10, v10, v14
	v_add_f16_e32 v61, v61, v62
	v_fma_f16 v62, -0.5, v65, v30
	v_add_f16_e32 v32, v32, v5
	v_sub_f16_e32 v12, v12, v14
	v_sub_f16_e32 v14, v1, v4
	;; [unrolled: 1-line block ×3, first 2 shown]
	v_fmac_f16_e32 v30, -0.5, v59
	v_sub_f16_e32 v1, v4, v1
	v_sub_f16_e32 v4, v5, v6
	v_add_f16_e32 v5, v68, v72
	v_add_f16_e32 v10, v10, v13
	v_sub_f16_e32 v13, v71, v13
	v_fmamk_f16 v59, v12, 0xbb9c, v30
	v_add_f16_e32 v1, v1, v4
	v_fmac_f16_e32 v30, 0x3b9c, v12
	v_add_f16_e32 v4, v5, v3
	v_fmac_f16_e32 v11, 0x34f2, v58
	v_fmac_f16_e32 v9, 0x34f2, v58
	v_fmamk_f16 v58, v13, 0x3b9c, v62
	v_fmac_f16_e32 v62, 0xbb9c, v13
	v_add_f16_e32 v5, v3, v15
	v_add_f16_e32 v32, v32, v6
	v_fmac_f16_e32 v59, 0x38b4, v13
	v_fmac_f16_e32 v30, 0xb8b4, v13
	v_add_f16_e32 v4, v4, v15
	v_add_f16_e32 v6, v72, v57
	v_fmac_f16_e32 v58, 0x38b4, v12
	v_add_f16_e32 v14, v14, v64
	v_fmac_f16_e32 v62, 0xb8b4, v12
	v_fma_f16 v5, -0.5, v5, v68
	v_sub_f16_e32 v12, v2, v33
	v_fmac_f16_e32 v59, 0x34f2, v1
	v_fmac_f16_e32 v30, 0x34f2, v1
	v_add_f16_e32 v1, v4, v57
	v_sub_f16_e32 v4, v8, v7
	v_fmac_f16_e32 v68, -0.5, v6
	v_fmac_f16_e32 v58, 0x34f2, v14
	v_fmac_f16_e32 v62, 0x34f2, v14
	v_fmamk_f16 v6, v12, 0xbb9c, v5
	v_sub_f16_e32 v13, v72, v3
	v_sub_f16_e32 v14, v57, v15
	v_fmac_f16_e32 v5, 0x3b9c, v12
	v_fmac_f16_e32 v60, 0x34f2, v61
	;; [unrolled: 1-line block ×3, first 2 shown]
	v_fmamk_f16 v61, v4, 0x3b9c, v68
	v_fmac_f16_e32 v68, 0xbb9c, v4
	v_sub_f16_e32 v64, v3, v72
	v_sub_f16_e32 v65, v15, v57
	v_fmac_f16_e32 v6, 0xb8b4, v4
	v_add_f16_e32 v13, v13, v14
	v_fmac_f16_e32 v5, 0x38b4, v4
	v_add_f16_e32 v4, v8, v7
	v_fmac_f16_e32 v61, 0xb8b4, v12
	v_fmac_f16_e32 v68, 0x38b4, v12
	v_add_f16_e32 v12, v2, v33
	v_add_f16_e32 v14, v64, v65
	v_fmac_f16_e32 v6, 0x34f2, v13
	v_fmac_f16_e32 v5, 0x34f2, v13
	v_fma_f16 v4, -0.5, v4, v34
	v_sub_f16_e32 v13, v72, v57
	v_add_f16_e32 v57, v34, v2
	v_sub_f16_e32 v3, v3, v15
	v_fmac_f16_e32 v34, -0.5, v12
	v_fmac_f16_e32 v61, 0x34f2, v14
	v_fmac_f16_e32 v68, 0x34f2, v14
	v_fmamk_f16 v12, v13, 0x3b9c, v4
	v_sub_f16_e32 v14, v2, v8
	v_sub_f16_e32 v15, v33, v7
	v_fmamk_f16 v64, v3, 0xbb9c, v34
	v_sub_f16_e32 v2, v8, v2
	v_sub_f16_e32 v65, v7, v33
	v_fmac_f16_e32 v34, 0x3b9c, v3
	v_fmac_f16_e32 v4, 0xbb9c, v13
	;; [unrolled: 1-line block ×3, first 2 shown]
	v_add_f16_e32 v14, v14, v15
	v_fmac_f16_e32 v64, 0x38b4, v13
	v_add_f16_e32 v2, v2, v65
	v_fmac_f16_e32 v34, 0xb8b4, v13
	v_fmac_f16_e32 v4, 0xb8b4, v3
	v_add_f16_e32 v8, v57, v8
	v_fmac_f16_e32 v12, 0x34f2, v14
	v_fmac_f16_e32 v64, 0x34f2, v2
	v_fmac_f16_e32 v34, 0x34f2, v2
	v_fmac_f16_e32 v4, 0x34f2, v14
	v_add_f16_e32 v2, v8, v7
	v_mul_f16_e32 v3, 0xb8b4, v12
	v_mul_f16_e32 v12, 0x3a79, v12
	;; [unrolled: 1-line block ×8, first 2 shown]
	v_add_f16_e32 v2, v2, v33
	v_fmac_f16_e32 v3, 0x3a79, v6
	v_fmac_f16_e32 v12, 0x38b4, v6
	;; [unrolled: 1-line block ×8, first 2 shown]
	v_add_f16_e32 v14, v10, v1
	v_add_f16_e32 v15, v11, v3
	v_add_f16_e32 v5, v32, v2
	v_add_f16_e32 v6, v58, v12
	v_add_f16_e32 v33, v60, v7
	v_add_f16_e32 v57, v0, v8
	v_add_f16_e32 v61, v59, v64
	v_add_f16_e32 v66, v30, v34
	v_add_f16_e32 v65, v9, v13
	v_add_f16_e32 v67, v62, v4
	v_sub_f16_e32 v1, v10, v1
	v_sub_f16_e32 v2, v32, v2
	;; [unrolled: 1-line block ×10, first 2 shown]
	v_pack_b32_f16 v4, v14, v5
	v_pack_b32_f16 v5, v15, v6
	;; [unrolled: 1-line block ×6, first 2 shown]
	v_add_nc_u32_e32 v2, 0x200, v63
	v_pack_b32_f16 v3, v3, v10
	v_pack_b32_f16 v7, v7, v11
	v_add_nc_u32_e32 v10, 0x400, v63
	v_pack_b32_f16 v0, v0, v12
	v_pack_b32_f16 v11, v8, v9
	v_add_nc_u32_e32 v12, 0x600, v63
	ds_store_2addr_b32 v63, v4, v5 offset1:60
	ds_store_2addr_b32 v63, v6, v13 offset0:120 offset1:180
	ds_store_2addr_b32 v2, v14, v1 offset0:112 offset1:172
	;; [unrolled: 1-line block ×4, first 2 shown]
	v_add_nc_u32_e32 v0, 0x580, v37
	v_add_nc_u32_e32 v4, 0x1200, v37
	;; [unrolled: 1-line block ×3, first 2 shown]
	global_wb scope:SCOPE_SE
	s_wait_dscnt 0x0
	s_barrier_signal -1
	s_barrier_wait -1
	global_inv scope:SCOPE_SE
	ds_load_2addr_b32 v[2:3], v37 offset1:180
	ds_load_2addr_b32 v[0:1], v0 offset0:8 offset1:248
	ds_load_2addr_b32 v[6:7], v4 offset0:48 offset1:228
	;; [unrolled: 1-line block ×3, first 2 shown]
	ds_load_b32 v11, v37 offset:6240
	s_and_saveexec_b32 s1, s0
	s_cbranch_execz .LBB0_15
; %bb.14:
	ds_load_b32 v8, v37 offset:2160
	ds_load_b32 v25, v37 offset:4560
	;; [unrolled: 1-line block ×3, first 2 shown]
	s_wait_dscnt 0x2
	v_lshrrev_b32_e32 v9, 16, v8
	s_wait_dscnt 0x1
	v_lshrrev_b32_e32 v27, 16, v25
	;; [unrolled: 2-line block ×3, first 2 shown]
.LBB0_15:
	s_wait_alu 0xfffe
	s_or_b32 exec_lo, exec_lo, s1
	s_wait_dscnt 0x3
	v_lshrrev_b32_e32 v13, 16, v1
	s_wait_dscnt 0x2
	v_lshrrev_b32_e32 v14, 16, v6
	s_wait_dscnt 0x1
	v_lshrrev_b32_e32 v30, 16, v4
	v_lshrrev_b32_e32 v32, 16, v7
	v_mul_f16_e32 v58, v80, v1
	v_mul_f16_e32 v34, v80, v13
	;; [unrolled: 1-line block ×3, first 2 shown]
	v_lshrrev_b32_e32 v57, 16, v5
	s_wait_dscnt 0x0
	v_lshrrev_b32_e32 v59, 16, v11
	v_fma_f16 v13, v23, v13, -v58
	v_fmac_f16_e32 v34, v23, v1
	v_mul_f16_e32 v1, v79, v6
	v_mul_f16_e32 v23, v78, v30
	v_fmac_f16_e32 v60, v24, v6
	v_mul_f16_e32 v6, v78, v4
	v_lshrrev_b32_e32 v12, 16, v2
	v_fma_f16 v1, v24, v14, -v1
	v_mul_f16_e32 v14, v76, v32
	v_fmac_f16_e32 v23, v19, v4
	v_mul_f16_e32 v4, v76, v7
	v_fma_f16 v6, v19, v30, -v6
	v_mul_f16_e32 v19, v77, v57
	v_fmac_f16_e32 v14, v20, v7
	v_mul_f16_e32 v7, v77, v5
	;; [unrolled: 4-line block ×3, first 2 shown]
	v_fma_f16 v7, v21, v57, -v7
	v_add_f16_e32 v21, v34, v60
	v_fmac_f16_e32 v20, v22, v11
	v_add_f16_e32 v11, v2, v34
	v_fma_f16 v5, v22, v59, -v5
	v_add_f16_e32 v22, v13, v1
	v_fma_f16 v2, -0.5, v21, v2
	v_sub_f16_e32 v21, v13, v1
	v_add_f16_e32 v13, v12, v13
	v_add_f16_e32 v30, v3, v23
	v_fmac_f16_e32 v12, -0.5, v22
	v_sub_f16_e32 v22, v34, v60
	v_lshrrev_b32_e32 v15, 16, v3
	v_add_f16_e32 v1, v13, v1
	v_add_f16_e32 v13, v23, v14
	v_lshrrev_b32_e32 v33, 16, v0
	v_fmamk_f16 v24, v21, 0xbaee, v2
	v_fmac_f16_e32 v2, 0x3aee, v21
	v_fmamk_f16 v21, v22, 0x3aee, v12
	v_fmac_f16_e32 v12, 0xbaee, v22
	v_add_f16_e32 v22, v6, v4
	v_fmac_f16_e32 v3, -0.5, v13
	v_sub_f16_e32 v13, v6, v4
	v_add_f16_e32 v30, v30, v14
	v_sub_f16_e32 v14, v23, v14
	v_add_f16_e32 v23, v19, v20
	v_add_f16_e32 v32, v7, v5
	;; [unrolled: 1-line block ×3, first 2 shown]
	v_fmac_f16_e32 v15, -0.5, v22
	v_fmamk_f16 v22, v13, 0xbaee, v3
	v_fmac_f16_e32 v3, 0x3aee, v13
	v_add_f16_e32 v13, v0, v19
	v_fmac_f16_e32 v0, -0.5, v23
	v_sub_f16_e32 v23, v7, v5
	v_add_f16_e32 v7, v33, v7
	v_fmac_f16_e32 v33, -0.5, v32
	v_sub_f16_e32 v19, v19, v20
	v_add_f16_e32 v11, v11, v60
	v_add_f16_e32 v4, v6, v4
	;; [unrolled: 1-line block ×3, first 2 shown]
	v_pack_b32_f16 v7, v24, v21
	v_fmamk_f16 v6, v14, 0x3aee, v15
	v_fmac_f16_e32 v15, 0xbaee, v14
	v_pack_b32_f16 v2, v2, v12
	v_add_f16_e32 v13, v13, v20
	v_fmamk_f16 v14, v23, 0xbaee, v0
	v_fmamk_f16 v12, v19, 0x3aee, v33
	v_fmac_f16_e32 v0, 0x3aee, v23
	v_fmac_f16_e32 v33, 0xbaee, v19
	v_pack_b32_f16 v1, v11, v1
	ds_store_b32 v37, v7 offset:2400
	ds_store_b32 v37, v2 offset:4800
	v_pack_b32_f16 v2, v30, v4
	v_pack_b32_f16 v3, v3, v15
	;; [unrolled: 1-line block ×6, first 2 shown]
	ds_store_2addr_b32 v37, v1, v2 offset1:180
	ds_store_b32 v37, v3 offset:5520
	ds_store_b32 v37, v5 offset:1440
	ds_store_2addr_b32 v10, v4, v6 offset0:12 offset1:192
	ds_store_b32 v37, v0 offset:6240
	s_and_saveexec_b32 s1, s0
	s_cbranch_execz .LBB0_17
; %bb.16:
	v_mul_f16_e32 v0, v31, v25
	v_mul_f16_e32 v1, v28, v26
	;; [unrolled: 1-line block ×4, first 2 shown]
	s_delay_alu instid0(VALU_DEP_4) | instskip(NEXT) | instid1(VALU_DEP_4)
	v_fma_f16 v0, v17, v27, -v0
	v_fma_f16 v1, v18, v29, -v1
	s_delay_alu instid0(VALU_DEP_4) | instskip(NEXT) | instid1(VALU_DEP_4)
	v_fmac_f16_e32 v2, v17, v25
	v_fmac_f16_e32 v3, v18, v26
	s_delay_alu instid0(VALU_DEP_4) | instskip(NEXT) | instid1(VALU_DEP_4)
	v_add_f16_e32 v7, v9, v0
	v_add_f16_e32 v4, v0, v1
	v_sub_f16_e32 v0, v0, v1
	s_delay_alu instid0(VALU_DEP_4)
	v_add_f16_e32 v6, v2, v3
	v_sub_f16_e32 v5, v2, v3
	v_add_f16_e32 v2, v8, v2
	v_fma_f16 v4, -0.5, v4, v9
	v_add_f16_e32 v1, v7, v1
	v_fma_f16 v6, -0.5, v6, v8
	s_delay_alu instid0(VALU_DEP_4) | instskip(NEXT) | instid1(VALU_DEP_4)
	v_add_f16_e32 v2, v2, v3
	v_fmamk_f16 v3, v5, 0xbaee, v4
	v_fmac_f16_e32 v4, 0x3aee, v5
	s_delay_alu instid0(VALU_DEP_4) | instskip(SKIP_2) | instid1(VALU_DEP_3)
	v_fmamk_f16 v5, v0, 0x3aee, v6
	v_fmac_f16_e32 v6, 0xbaee, v0
	v_pack_b32_f16 v0, v2, v1
	v_pack_b32_f16 v2, v5, v3
	s_delay_alu instid0(VALU_DEP_3)
	v_pack_b32_f16 v1, v6, v4
	ds_store_b32 v37, v0 offset:2160
	ds_store_b32 v37, v1 offset:4560
	;; [unrolled: 1-line block ×3, first 2 shown]
.LBB0_17:
	s_wait_alu 0xfffe
	s_or_b32 exec_lo, exec_lo, s1
	global_wb scope:SCOPE_SE
	s_wait_dscnt 0x0
	s_barrier_signal -1
	s_barrier_wait -1
	global_inv scope:SCOPE_SE
	ds_load_2addr_b32 v[0:1], v37 offset1:180
	v_mad_co_u64_u32 v[17:18], null, s8, v49, 0
	v_add_nc_u32_e32 v4, 0x500, v37
	s_mov_b32 s6, 0x789abcdf
	s_mov_b32 s7, 0x3f423456
	v_mad_co_u64_u32 v[14:15], null, s10, v16, 0
	s_wait_dscnt 0x0
	v_lshrrev_b32_e32 v2, 16, v0
	v_mul_f16_e32 v3, v56, v0
	v_lshrrev_b32_e32 v5, 16, v1
	v_mul_f16_e32 v6, v55, v1
	s_delay_alu instid0(VALU_DEP_4) | instskip(NEXT) | instid1(VALU_DEP_4)
	v_mul_f16_e32 v8, v56, v2
	v_fma_f16 v7, v52, v2, -v3
	ds_load_2addr_b32 v[2:3], v4 offset0:40 offset1:220
	v_fma_f16 v4, v53, v5, -v6
	v_mul_f16_e32 v9, v55, v5
	v_fmac_f16_e32 v8, v52, v0
	v_cvt_f32_f16_e32 v6, v7
	s_delay_alu instid0(VALU_DEP_4) | instskip(NEXT) | instid1(VALU_DEP_4)
	v_cvt_f32_f16_e32 v0, v4
	v_fmac_f16_e32 v9, v53, v1
	s_delay_alu instid0(VALU_DEP_4) | instskip(NEXT) | instid1(VALU_DEP_4)
	v_cvt_f32_f16_e32 v8, v8
	v_cvt_f64_f32_e32 v[4:5], v6
	s_delay_alu instid0(VALU_DEP_4) | instskip(NEXT) | instid1(VALU_DEP_3)
	v_cvt_f64_f32_e32 v[6:7], v0
	v_cvt_f64_f32_e32 v[0:1], v8
	v_cvt_f32_f16_e32 v8, v9
	s_delay_alu instid0(VALU_DEP_1) | instskip(SKIP_4) | instid1(VALU_DEP_3)
	v_cvt_f64_f32_e32 v[8:9], v8
	s_wait_dscnt 0x0
	v_lshrrev_b32_e32 v10, 16, v2
	v_mul_f16_e32 v12, v54, v2
	v_lshrrev_b32_e32 v21, 16, v3
	v_mul_f16_e32 v11, v54, v10
	s_delay_alu instid0(VALU_DEP_1) | instskip(NEXT) | instid1(VALU_DEP_4)
	v_fmac_f16_e32 v11, v51, v2
	v_fma_f16 v2, v51, v10, -v12
	s_delay_alu instid0(VALU_DEP_2) | instskip(NEXT) | instid1(VALU_DEP_2)
	v_cvt_f32_f16_e32 v10, v11
	v_cvt_f32_f16_e32 v2, v2
	s_delay_alu instid0(VALU_DEP_2) | instskip(NEXT) | instid1(VALU_DEP_2)
	v_cvt_f64_f32_e32 v[10:11], v10
	v_cvt_f64_f32_e32 v[12:13], v2
	v_dual_mov_b32 v2, v15 :: v_dual_mov_b32 v15, v18
	s_wait_alu 0xfffe
	v_mul_f64_e32 v[4:5], s[6:7], v[4:5]
	s_delay_alu instid0(VALU_DEP_2)
	v_mad_co_u64_u32 v[18:19], null, s11, v16, v[2:3]
	v_mul_f64_e32 v[6:7], s[6:7], v[6:7]
	v_mul_f64_e32 v[0:1], s[6:7], v[0:1]
	v_mad_co_u64_u32 v[19:20], null, s9, v49, v[15:16]
	v_mul_f16_e32 v2, v50, v21
	v_mov_b32_e32 v15, v18
	v_mul_f64_e32 v[8:9], s[6:7], v[8:9]
	s_delay_alu instid0(VALU_DEP_3) | instskip(SKIP_1) | instid1(VALU_DEP_4)
	v_fmac_f16_e32 v2, v48, v3
	v_mov_b32_e32 v18, v19
	v_lshlrev_b64_e32 v[14:15], 2, v[14:15]
	v_mul_f16_e32 v3, v50, v3
	s_delay_alu instid0(VALU_DEP_4) | instskip(NEXT) | instid1(VALU_DEP_2)
	v_cvt_f32_f16_e32 v2, v2
	v_fma_f16 v3, v48, v21, -v3
	v_mul_f64_e32 v[10:11], s[6:7], v[10:11]
	v_mul_f64_e32 v[12:13], s[6:7], v[12:13]
	v_and_or_b32 v4, 0x1ff, v5, v4
	v_lshrrev_b32_e32 v16, 8, v5
	v_bfe_u32 v19, v5, 20, 11
	v_and_or_b32 v6, 0x1ff, v7, v6
	v_and_or_b32 v0, 0x1ff, v1, v0
	v_cmp_ne_u32_e32 vcc_lo, 0, v4
	v_lshrrev_b32_e32 v20, 8, v7
	v_sub_nc_u32_e32 v25, 0x3f1, v19
	v_add_nc_u32_e32 v19, 0xfffffc10, v19
	v_lshrrev_b32_e32 v23, 8, v1
	s_wait_alu 0xfffd
	v_cndmask_b32_e64 v4, 0, 1, vcc_lo
	v_cmp_ne_u32_e32 vcc_lo, 0, v6
	v_and_or_b32 v8, 0x1ff, v9, v8
	v_lshrrev_b32_e32 v26, 8, v9
	v_bfe_u32 v27, v9, 20, 11
	v_and_or_b32 v4, 0xffe, v16, v4
	s_wait_alu 0xfffd
	v_cndmask_b32_e64 v6, 0, 1, vcc_lo
	v_cmp_ne_u32_e32 vcc_lo, 0, v0
	v_bfe_u32 v24, v1, 20, 11
	v_med3_i32 v16, v25, 0, 13
	v_sub_nc_u32_e32 v25, 0x3f1, v27
	v_lshl_or_b32 v31, v19, 12, v4
	s_wait_alu 0xfffd
	v_cndmask_b32_e64 v0, 0, 1, vcc_lo
	v_cmp_ne_u32_e32 vcc_lo, 0, v8
	v_add_nc_u32_e32 v27, 0xfffffc10, v27
	v_bfe_u32 v22, v7, 20, 11
	v_sub_nc_u32_e32 v29, 0x3f1, v24
	v_and_or_b32 v6, 0xffe, v20, v6
	s_wait_alu 0xfffd
	v_cndmask_b32_e64 v8, 0, 1, vcc_lo
	v_and_or_b32 v0, 0xffe, v23, v0
	v_cmp_ne_u32_e32 vcc_lo, 0, v4
	v_sub_nc_u32_e32 v28, 0x3f1, v22
	v_and_or_b32 v10, 0x1ff, v11, v10
	v_and_or_b32 v8, 0xffe, v26, v8
	v_med3_i32 v23, v29, 0, 13
	v_or_b32_e32 v29, 0x1000, v4
	s_wait_alu 0xfffd
	v_cndmask_b32_e64 v4, 0, 1, vcc_lo
	v_cmp_ne_u32_e32 vcc_lo, 0, v6
	v_lshl_or_b32 v53, v27, 12, v8
	v_add_nc_u32_e32 v24, 0xfffffc10, v24
	v_or_b32_e32 v26, 0x1000, v6
	v_med3_i32 v20, v28, 0, 13
	v_lshrrev_b32_e32 v51, v16, v29
	v_or_b32_e32 v34, 0x1000, v0
	v_lshl_or_b32 v49, v24, 12, v0
	v_add_nc_u32_e32 v22, 0xfffffc10, v22
	v_lshrrev_b32_e32 v54, v20, v26
	v_lshlrev_b32_e32 v16, v16, v51
	v_lshrrev_b32_e32 v28, 8, v11
	v_or_b32_e32 v52, 0x1000, v8
	v_lshl_or_b32 v32, v22, 12, v6
	s_wait_alu 0xfffd
	v_cndmask_b32_e64 v6, 0, 1, vcc_lo
	v_cmp_ne_u32_e32 vcc_lo, 0, v10
	v_lshlrev_b32_e32 v20, v20, v54
	v_med3_i32 v25, v25, 0, 13
	v_lshl_or_b32 v4, v4, 9, 0x7c00
	v_lshrrev_b32_e32 v1, 16, v1
	s_wait_alu 0xfffd
	v_cndmask_b32_e64 v10, 0, 1, vcc_lo
	v_cmp_ne_u32_e32 vcc_lo, 0, v0
	v_lshrrev_b32_e32 v55, v25, v52
	v_lshrrev_b32_e32 v5, 16, v5
	v_bfe_u32 v30, v11, 20, 11
	v_and_or_b32 v10, 0xffe, v28, v10
	s_wait_alu 0xfffd
	v_cndmask_b32_e64 v0, 0, 1, vcc_lo
	v_cmp_ne_u32_e32 vcc_lo, 0, v8
	v_lshrrev_b32_e32 v28, v23, v34
	v_sub_nc_u32_e32 v33, 0x3f1, v30
	v_lshrrev_b32_e32 v9, 16, v9
	v_lshl_or_b32 v0, v0, 9, 0x7c00
	s_wait_alu 0xfffd
	v_cndmask_b32_e64 v8, 0, 1, vcc_lo
	v_cmp_ne_u32_e32 vcc_lo, v16, v29
	v_lshlrev_b32_e32 v23, v23, v28
	v_lshrrev_b32_e32 v7, 16, v7
	s_delay_alu instid0(VALU_DEP_4) | instskip(SKIP_3) | instid1(VALU_DEP_2)
	v_lshl_or_b32 v8, v8, 9, 0x7c00
	s_wait_alu 0xfffd
	v_cndmask_b32_e64 v16, 0, 1, vcc_lo
	v_cmp_ne_u32_e32 vcc_lo, v20, v26
	v_or_b32_e32 v16, v51, v16
	s_wait_alu 0xfffd
	v_cndmask_b32_e64 v20, 0, 1, vcc_lo
	v_cmp_ne_u32_e32 vcc_lo, v23, v34
	s_delay_alu instid0(VALU_DEP_2) | instskip(SKIP_3) | instid1(VALU_DEP_2)
	v_or_b32_e32 v20, v54, v20
	v_lshlrev_b32_e32 v25, v25, v55
	s_wait_alu 0xfffd
	v_cndmask_b32_e64 v23, 0, 1, vcc_lo
	v_cmp_ne_u32_e32 vcc_lo, v25, v52
	s_delay_alu instid0(VALU_DEP_2) | instskip(SKIP_3) | instid1(VALU_DEP_2)
	v_or_b32_e32 v23, v28, v23
	s_wait_alu 0xfffd
	v_cndmask_b32_e64 v25, 0, 1, vcc_lo
	v_cmp_gt_i32_e32 vcc_lo, 1, v19
	v_or_b32_e32 v25, v55, v25
	s_wait_alu 0xfffd
	v_cndmask_b32_e32 v16, v31, v16, vcc_lo
	v_cmp_gt_i32_e32 vcc_lo, 1, v22
	s_delay_alu instid0(VALU_DEP_2)
	v_and_b32_e32 v26, 7, v16
	s_wait_alu 0xfffd
	v_cndmask_b32_e32 v20, v32, v20, vcc_lo
	v_cmp_gt_i32_e32 vcc_lo, 1, v24
	v_lshrrev_b32_e32 v16, 2, v16
	v_cmp_eq_u32_e64 s0, 3, v26
	s_wait_alu 0xfffd
	v_dual_cndmask_b32 v23, v49, v23 :: v_dual_and_b32 v28, 7, v20
	v_cmp_gt_i32_e32 vcc_lo, 1, v27
	v_lshrrev_b32_e32 v20, 2, v20
	s_delay_alu instid0(VALU_DEP_3) | instskip(NEXT) | instid1(VALU_DEP_4)
	v_cmp_lt_i32_e64 s3, 5, v28
	v_and_b32_e32 v29, 7, v23
	s_wait_alu 0xfffd
	v_cndmask_b32_e32 v25, v53, v25, vcc_lo
	v_lshrrev_b32_e32 v23, 2, v23
	v_cmp_lt_i32_e32 vcc_lo, 5, v26
	v_cmp_eq_u32_e64 s4, 3, v28
	v_cmp_lt_i32_e64 s1, 5, v29
	v_cmp_eq_u32_e64 s2, 3, v29
	v_and_b32_e32 v26, 7, v25
	s_or_b32 vcc_lo, s0, vcc_lo
	v_cmp_gt_i32_e64 s0, 31, v24
	s_wait_alu 0xfffe
	v_add_co_ci_u32_e32 v16, vcc_lo, 0, v16, vcc_lo
	s_or_b32 s1, s2, s1
	v_cmp_lt_i32_e32 vcc_lo, 5, v26
	s_wait_alu 0xfffe
	v_add_co_ci_u32_e64 v23, s1, 0, v23, s1
	v_cmp_gt_i32_e64 s1, 31, v19
	v_lshrrev_b32_e32 v25, 2, v25
	s_delay_alu instid0(VALU_DEP_3) | instskip(SKIP_4) | instid1(VALU_DEP_3)
	v_cndmask_b32_e64 v23, 0x7c00, v23, s0
	v_cmp_eq_u32_e64 s0, 3, v26
	s_wait_alu 0xf1ff
	v_cndmask_b32_e64 v16, 0x7c00, v16, s1
	v_cmp_eq_u32_e64 s1, 0x40f, v24
	s_or_b32 vcc_lo, s0, vcc_lo
	s_delay_alu instid0(VALU_DEP_1) | instskip(SKIP_3) | instid1(VALU_DEP_3)
	v_cndmask_b32_e64 v0, v23, v0, s1
	s_wait_alu 0xfffe
	v_add_co_ci_u32_e32 v23, vcc_lo, 0, v25, vcc_lo
	v_cmp_eq_u32_e32 vcc_lo, 0x40f, v19
	v_and_or_b32 v0, 0x8000, v1, v0
	s_wait_alu 0xfffd
	v_cndmask_b32_e32 v4, v16, v4, vcc_lo
	s_or_b32 vcc_lo, s4, s3
	s_delay_alu instid0(VALU_DEP_2)
	v_and_b32_e32 v0, 0xffff, v0
	s_wait_alu 0xfffe
	v_add_co_ci_u32_e32 v1, vcc_lo, 0, v20, vcc_lo
	v_cmp_gt_i32_e32 vcc_lo, 31, v27
	v_and_or_b32 v4, 0x8000, v5, v4
	s_mul_u64 s[2:3], s[8:9], 0x2d0
	s_wait_alu 0xfffd
	v_cndmask_b32_e32 v16, 0x7c00, v23, vcc_lo
	v_cmp_gt_i32_e32 vcc_lo, 31, v22
	s_wait_alu 0xfffd
	v_cndmask_b32_e32 v5, 0x7c00, v1, vcc_lo
	v_cmp_eq_u32_e32 vcc_lo, 0x40f, v27
	s_wait_alu 0xfffd
	v_cndmask_b32_e32 v8, v16, v8, vcc_lo
	v_lshl_or_b32 v16, v4, 16, v0
	v_cvt_f64_f32_e32 v[0:1], v2
	v_lshl_or_b32 v2, v6, 9, 0x7c00
	v_or_b32_e32 v6, 0x1000, v10
	v_med3_i32 v4, v33, 0, 13
	v_cmp_eq_u32_e32 vcc_lo, 0x40f, v22
	v_and_or_b32 v8, 0x8000, v9, v8
	s_delay_alu instid0(VALU_DEP_3)
	v_lshrrev_b32_e32 v19, v4, v6
	s_wait_alu 0xfffd
	v_cndmask_b32_e32 v2, v5, v2, vcc_lo
	v_add_co_u32 v14, vcc_lo, s12, v14
	s_wait_alu 0xfffd
	v_add_co_ci_u32_e32 v15, vcc_lo, s13, v15, vcc_lo
	v_lshlrev_b32_e32 v20, v4, v19
	v_and_or_b32 v9, 0x8000, v7, v2
	v_and_or_b32 v2, 0x1ff, v13, v12
	v_add_nc_u32_e32 v12, 0xfffffc10, v30
	v_lshrrev_b32_e32 v7, 8, v13
	v_cmp_ne_u32_e32 vcc_lo, v20, v6
	v_lshlrev_b64_e32 v[4:5], 2, v[17:18]
	v_bfe_u32 v17, v13, 20, 11
	v_lshl_or_b32 v18, v12, 12, v10
	v_and_b32_e32 v8, 0xffff, v8
	s_wait_alu 0xfffd
	v_cndmask_b32_e64 v6, 0, 1, vcc_lo
	v_cmp_ne_u32_e32 vcc_lo, 0, v2
	v_lshrrev_b32_e32 v13, 16, v13
	s_delay_alu instid0(VALU_DEP_3) | instskip(SKIP_3) | instid1(VALU_DEP_2)
	v_or_b32_e32 v6, v19, v6
	s_wait_alu 0xfffd
	v_cndmask_b32_e64 v2, 0, 1, vcc_lo
	v_cmp_gt_i32_e32 vcc_lo, 1, v12
	v_and_or_b32 v19, 0xffe, v7, v2
	v_cvt_f32_f16_e32 v2, v3
	v_sub_nc_u32_e32 v7, 0x3f1, v17
	s_wait_alu 0xfffd
	v_cndmask_b32_e32 v18, v18, v6, vcc_lo
	v_mul_f64_e32 v[0:1], s[6:7], v[0:1]
	v_or_b32_e32 v20, 0x1000, v19
	v_cvt_f64_f32_e32 v[2:3], v2
	v_med3_i32 v21, v7, 0, 13
	v_add_nc_u32_e32 v6, 0xb00, v37
	v_and_b32_e32 v22, 7, v18
	v_add_co_u32 v4, vcc_lo, v14, v4
	s_delay_alu instid0(VALU_DEP_4)
	v_lshrrev_b32_e32 v23, v21, v20
	s_wait_alu 0xfffd
	v_add_co_ci_u32_e32 v5, vcc_lo, v15, v5, vcc_lo
	ds_load_2addr_b32 v[6:7], v6 offset0:16 offset1:196
	v_cmp_lt_i32_e32 vcc_lo, 5, v22
	v_cmp_eq_u32_e64 s0, 3, v22
	v_lshl_or_b32 v15, v9, 16, v8
	v_lshrrev_b32_e32 v8, 2, v18
	v_lshlrev_b32_e32 v14, v21, v23
	s_delay_alu instid0(VALU_DEP_4) | instskip(SKIP_1) | instid1(VALU_DEP_2)
	s_or_b32 vcc_lo, s0, vcc_lo
	s_wait_alu 0xfffe
	v_add_co_ci_u32_e32 v8, vcc_lo, 0, v8, vcc_lo
	s_delay_alu instid0(VALU_DEP_2)
	v_cmp_ne_u32_e64 s1, v14, v20
	v_cmp_ne_u32_e32 vcc_lo, 0, v10
	v_add_nc_u32_e32 v14, 0xfffffc10, v17
	v_lshrrev_b32_e32 v20, 16, v11
	s_wait_alu 0xf1ff
	v_cndmask_b32_e64 v9, 0, 1, s1
	s_wait_alu 0xfffd
	v_cndmask_b32_e64 v10, 0, 1, vcc_lo
	v_cmp_gt_i32_e32 vcc_lo, 31, v12
	v_lshl_or_b32 v17, v14, 12, v19
	s_wait_dscnt 0x0
	v_lshrrev_b32_e32 v18, 16, v6
	v_or_b32_e32 v9, v23, v9
	v_lshl_or_b32 v10, v10, 9, 0x7c00
	s_wait_alu 0xfffd
	v_cndmask_b32_e32 v8, 0x7c00, v8, vcc_lo
	v_cmp_gt_i32_e32 vcc_lo, 1, v14
	v_and_or_b32 v0, 0x1ff, v1, v0
	v_lshrrev_b32_e32 v11, 8, v1
	s_wait_alu 0xfffd
	v_cndmask_b32_e32 v9, v17, v9, vcc_lo
	v_cmp_eq_u32_e32 vcc_lo, 0x40f, v12
	v_mul_f16_e32 v17, v47, v18
	v_mul_f64_e32 v[2:3], s[6:7], v[2:3]
	v_cmp_ne_u32_e64 s1, 0, v0
	s_wait_alu 0xfffd
	v_cndmask_b32_e32 v12, v8, v10, vcc_lo
	v_and_b32_e32 v8, 7, v9
	v_fmac_f16_e32 v17, v46, v6
	v_lshrrev_b32_e32 v10, 2, v9
	s_wait_alu 0xf1ff
	v_cndmask_b32_e64 v0, 0, 1, s1
	v_mul_f16_e32 v6, v47, v6
	v_cmp_lt_i32_e32 vcc_lo, 5, v8
	v_cmp_eq_u32_e64 s0, 3, v8
	v_cvt_f32_f16_e32 v8, v17
	v_bfe_u32 v17, v1, 20, 11
	v_and_or_b32 v0, 0xffe, v11, v0
	v_fma_f16 v6, v46, v18, -v6
	s_or_b32 vcc_lo, s0, vcc_lo
	v_cvt_f64_f32_e32 v[8:9], v8
	s_wait_alu 0xfffe
	v_add_co_ci_u32_e32 v10, vcc_lo, 0, v10, vcc_lo
	v_cmp_ne_u32_e32 vcc_lo, 0, v19
	v_sub_nc_u32_e32 v11, 0x3f1, v17
	v_or_b32_e32 v21, 0x1000, v0
	v_cvt_f32_f16_e32 v6, v6
	v_and_or_b32 v20, 0x8000, v20, v12
	s_wait_alu 0xfffd
	v_cndmask_b32_e64 v19, 0, 1, vcc_lo
	v_cmp_gt_i32_e32 vcc_lo, 31, v14
	v_med3_i32 v22, v11, 0, 13
	v_add_nc_u32_e32 v17, 0xfffffc10, v17
	v_and_b32_e32 v20, 0xffff, v20
	v_lshl_or_b32 v19, v19, 9, 0x7c00
	s_wait_alu 0xfffd
	v_cndmask_b32_e32 v10, 0x7c00, v10, vcc_lo
	v_cmp_eq_u32_e32 vcc_lo, 0x40f, v14
	s_wait_alu 0xfffd
	s_delay_alu instid0(VALU_DEP_2) | instskip(SKIP_4) | instid1(VALU_DEP_3)
	v_cndmask_b32_e32 v14, v10, v19, vcc_lo
	v_lshrrev_b32_e32 v19, v22, v21
	v_add_co_u32 v10, vcc_lo, v4, s2
	s_wait_alu 0xfffd
	v_add_co_ci_u32_e32 v11, vcc_lo, s3, v5, vcc_lo
	v_lshlrev_b32_e32 v18, v22, v19
	v_and_or_b32 v2, 0x1ff, v3, v2
	v_and_or_b32 v14, 0x8000, v13, v14
	v_cvt_f64_f32_e32 v[12:13], v6
	s_clause 0x1
	global_store_b32 v[4:5], v16, off
	global_store_b32 v[10:11], v15, off
	v_cmp_ne_u32_e32 vcc_lo, v18, v21
	v_lshrrev_b32_e32 v18, 8, v3
	v_bfe_u32 v21, v3, 20, 11
	v_lshl_or_b32 v14, v14, 16, v20
	s_wait_alu 0xfffd
	v_cndmask_b32_e64 v6, 0, 1, vcc_lo
	v_cmp_ne_u32_e32 vcc_lo, 0, v2
	v_mul_f64_e32 v[8:9], s[6:7], v[8:9]
	s_delay_alu instid0(VALU_DEP_3) | instskip(SKIP_4) | instid1(VALU_DEP_3)
	v_or_b32_e32 v6, v19, v6
	s_wait_alu 0xfffd
	v_cndmask_b32_e64 v2, 0, 1, vcc_lo
	v_lshl_or_b32 v19, v17, 12, v0
	v_cmp_gt_i32_e32 vcc_lo, 1, v17
	v_and_or_b32 v2, 0xffe, v18, v2
	v_sub_nc_u32_e32 v18, 0x3f1, v21
	s_wait_alu 0xfffd
	v_cndmask_b32_e32 v6, v19, v6, vcc_lo
	v_add_co_u32 v4, vcc_lo, v10, s2
	v_or_b32_e32 v19, 0x1000, v2
	v_med3_i32 v18, v18, 0, 13
	s_delay_alu instid0(VALU_DEP_4)
	v_and_b32_e32 v15, 7, v6
	s_wait_alu 0xfffd
	v_add_co_ci_u32_e32 v5, vcc_lo, s3, v11, vcc_lo
	v_lshrrev_b32_e32 v6, 2, v6
	v_lshrrev_b32_e32 v16, v18, v19
	v_cmp_lt_i32_e32 vcc_lo, 5, v15
	v_cmp_eq_u32_e64 s0, 3, v15
	v_lshrrev_b32_e32 v15, 16, v7
	global_store_b32 v[4:5], v14, off
	v_lshlrev_b32_e32 v10, v18, v16
	s_or_b32 vcc_lo, s0, vcc_lo
	v_mul_f16_e32 v20, v45, v15
	s_wait_alu 0xfffe
	v_add_co_ci_u32_e32 v6, vcc_lo, 0, v6, vcc_lo
	v_cmp_ne_u32_e64 s1, v10, v19
	v_add_nc_u32_e32 v19, 0xfffffc10, v21
	v_cmp_ne_u32_e32 vcc_lo, 0, v0
	v_mul_f64_e32 v[10:11], s[6:7], v[12:13]
	v_fmac_f16_e32 v20, v44, v7
	s_wait_alu 0xf1ff
	v_cndmask_b32_e64 v18, 0, 1, s1
	v_lshl_or_b32 v13, v19, 12, v2
	s_wait_alu 0xfffd
	v_cndmask_b32_e64 v0, 0, 1, vcc_lo
	v_cmp_gt_i32_e32 vcc_lo, 1, v19
	v_and_or_b32 v8, 0x1ff, v9, v8
	v_or_b32_e32 v12, v16, v18
	v_lshrrev_b32_e32 v21, 16, v1
	v_lshl_or_b32 v0, v0, 9, 0x7c00
	s_wait_alu 0xfffd
	s_delay_alu instid0(VALU_DEP_3) | instskip(SKIP_3) | instid1(VALU_DEP_4)
	v_cndmask_b32_e32 v16, v13, v12, vcc_lo
	v_cmp_gt_i32_e32 vcc_lo, 31, v17
	v_cvt_f32_f16_e32 v12, v20
	v_lshrrev_b32_e32 v20, 8, v9
	v_and_b32_e32 v18, 7, v16
	s_wait_alu 0xfffd
	v_cndmask_b32_e32 v6, 0x7c00, v6, vcc_lo
	v_cmp_ne_u32_e32 vcc_lo, 0, v8
	v_cvt_f64_f32_e32 v[12:13], v12
	v_cmp_eq_u32_e64 s0, 3, v18
	s_wait_alu 0xfffd
	v_cndmask_b32_e64 v8, 0, 1, vcc_lo
	v_cmp_eq_u32_e32 vcc_lo, 0x40f, v17
	s_delay_alu instid0(VALU_DEP_2)
	v_and_or_b32 v8, 0xffe, v20, v8
	s_wait_alu 0xfffd
	v_cndmask_b32_e32 v17, v6, v0, vcc_lo
	v_bfe_u32 v6, v9, 20, 11
	v_cmp_lt_i32_e32 vcc_lo, 5, v18
	v_mul_f16_e32 v0, v45, v7
	v_lshrrev_b32_e32 v7, 2, v16
	v_or_b32_e32 v16, 0x1000, v8
	v_sub_nc_u32_e32 v1, 0x3f1, v6
	s_or_b32 vcc_lo, s0, vcc_lo
	v_fma_f16 v0, v44, v15, -v0
	s_wait_alu 0xfffe
	v_add_co_ci_u32_e32 v7, vcc_lo, 0, v7, vcc_lo
	v_med3_i32 v15, v1, 0, 13
	v_cmp_ne_u32_e32 vcc_lo, 0, v2
	v_and_or_b32 v10, 0x1ff, v11, v10
	v_cvt_f32_f16_e32 v0, v0
	v_bfe_u32 v23, v11, 20, 11
	v_lshrrev_b32_e32 v18, v15, v16
	s_wait_alu 0xfffd
	v_cndmask_b32_e64 v2, 0, 1, vcc_lo
	v_cmp_gt_i32_e32 vcc_lo, 31, v19
	v_cvt_f64_f32_e32 v[0:1], v0
	v_add_nc_u32_e32 v22, 0xfffffc10, v6
	v_and_or_b32 v17, 0x8000, v21, v17
	v_lshl_or_b32 v2, v2, 9, 0x7c00
	s_wait_alu 0xfffd
	v_dual_cndmask_b32 v20, 0x7c00, v7 :: v_dual_lshlrev_b32 v7, v15, v18
	v_cmp_ne_u32_e32 vcc_lo, 0, v10
	v_lshrrev_b32_e32 v15, 8, v11
	v_lshrrev_b32_e32 v9, 16, v9
	v_lshrrev_b32_e32 v11, 16, v11
	s_wait_alu 0xfffd
	v_cndmask_b32_e64 v10, 0, 1, vcc_lo
	v_cmp_ne_u32_e32 vcc_lo, v7, v16
	v_mul_f64_e32 v[6:7], s[6:7], v[12:13]
	s_delay_alu instid0(VALU_DEP_3) | instskip(SKIP_4) | instid1(VALU_DEP_3)
	v_and_or_b32 v10, 0xffe, v15, v10
	s_wait_alu 0xfffd
	v_cndmask_b32_e64 v16, 0, 1, vcc_lo
	v_cmp_eq_u32_e32 vcc_lo, 0x40f, v19
	v_lshl_or_b32 v15, v22, 12, v8
	v_or_b32_e32 v13, v18, v16
	s_wait_alu 0xfffd
	v_cndmask_b32_e32 v12, v20, v2, vcc_lo
	v_sub_nc_u32_e32 v2, 0x3f1, v23
	v_cmp_gt_i32_e32 vcc_lo, 1, v22
	v_or_b32_e32 v16, 0x1000, v10
	v_add_nc_u32_e32 v18, 0x1000, v37
	s_delay_alu instid0(VALU_DEP_4)
	v_med3_i32 v19, v2, 0, 13
	s_wait_alu 0xfffd
	v_cndmask_b32_e32 v13, v15, v13, vcc_lo
	v_lshrrev_b32_e32 v15, 16, v3
	ds_load_2addr_b32 v[2:3], v18 offset0:56 offset1:236
	v_lshrrev_b32_e32 v18, v19, v16
	v_and_b32_e32 v20, 7, v13
	v_and_or_b32 v14, 0x8000, v15, v12
	v_lshrrev_b32_e32 v13, 2, v13
	v_mul_f64_e32 v[0:1], s[6:7], v[0:1]
	v_lshlrev_b32_e32 v12, v19, v18
	v_cmp_lt_i32_e32 vcc_lo, 5, v20
	v_cmp_eq_u32_e64 s0, 3, v20
	v_and_b32_e32 v15, 0xffff, v17
	s_delay_alu instid0(VALU_DEP_4) | instskip(SKIP_1) | instid1(VALU_DEP_4)
	v_cmp_ne_u32_e64 s1, v12, v16
	v_add_nc_u32_e32 v16, 0xfffffc10, v23
	s_or_b32 vcc_lo, s0, vcc_lo
	s_delay_alu instid0(VALU_DEP_3)
	v_lshl_or_b32 v14, v14, 16, v15
	s_wait_alu 0xfffe
	v_add_co_ci_u32_e32 v13, vcc_lo, 0, v13, vcc_lo
	v_cndmask_b32_e64 v12, 0, 1, s1
	v_cmp_ne_u32_e32 vcc_lo, 0, v8
	v_lshl_or_b32 v17, v16, 12, v10
	v_and_or_b32 v6, 0x1ff, v7, v6
	v_lshrrev_b32_e32 v20, 8, v7
	v_or_b32_e32 v12, v18, v12
	s_wait_dscnt 0x0
	v_lshrrev_b32_e32 v18, 16, v2
	s_wait_alu 0xfffd
	v_cndmask_b32_e64 v8, 0, 1, vcc_lo
	v_cmp_gt_i32_e32 vcc_lo, 1, v16
	v_bfe_u32 v21, v7, 20, 11
	s_delay_alu instid0(VALU_DEP_3) | instskip(SKIP_4) | instid1(VALU_DEP_3)
	v_lshl_or_b32 v8, v8, 9, 0x7c00
	s_wait_alu 0xfffd
	v_cndmask_b32_e32 v17, v17, v12, vcc_lo
	v_mul_f16_e32 v12, v43, v18
	v_cmp_gt_i32_e32 vcc_lo, 31, v22
	v_and_b32_e32 v19, 7, v17
	s_delay_alu instid0(VALU_DEP_3)
	v_fmac_f16_e32 v12, v42, v2
	s_wait_alu 0xfffd
	v_cndmask_b32_e32 v13, 0x7c00, v13, vcc_lo
	v_cmp_ne_u32_e32 vcc_lo, 0, v6
	v_lshrrev_b32_e32 v17, 2, v17
	v_cmp_eq_u32_e64 s0, 3, v19
	v_cvt_f32_f16_e32 v12, v12
	v_mul_f16_e32 v2, v43, v2
	s_wait_alu 0xfffd
	v_cndmask_b32_e64 v6, 0, 1, vcc_lo
	v_cmp_eq_u32_e32 vcc_lo, 0x40f, v22
	v_and_or_b32 v0, 0x1ff, v1, v0
	v_fma_f16 v2, v42, v18, -v2
	s_delay_alu instid0(VALU_DEP_4)
	v_and_or_b32 v6, 0xffe, v20, v6
	s_wait_alu 0xfffd
	v_cndmask_b32_e32 v8, v13, v8, vcc_lo
	v_cvt_f64_f32_e32 v[12:13], v12
	v_cmp_lt_i32_e32 vcc_lo, 5, v19
	v_sub_nc_u32_e32 v20, 0x3f1, v21
	v_or_b32_e32 v19, 0x1000, v6
	v_and_or_b32 v23, 0x8000, v9, v8
	v_lshrrev_b32_e32 v9, 8, v1
	s_or_b32 vcc_lo, s0, vcc_lo
	v_med3_i32 v20, v20, 0, 13
	s_wait_alu 0xfffe
	v_add_co_ci_u32_e32 v17, vcc_lo, 0, v17, vcc_lo
	v_cmp_gt_i32_e32 vcc_lo, 31, v16
	v_cvt_f32_f16_e32 v2, v2
	v_lshrrev_b32_e32 v22, v20, v19
	v_add_nc_u32_e32 v18, 0xfffffc10, v21
	s_wait_alu 0xfffd
	v_cndmask_b32_e32 v17, 0x7c00, v17, vcc_lo
	v_cmp_ne_u32_e32 vcc_lo, 0, v0
	v_lshlrev_b32_e32 v8, v20, v22
	v_bfe_u32 v20, v1, 20, 11
	s_wait_alu 0xfffd
	v_cndmask_b32_e64 v0, 0, 1, vcc_lo
	v_cmp_ne_u32_e32 vcc_lo, 0, v10
	s_delay_alu instid0(VALU_DEP_2)
	v_and_or_b32 v0, 0xffe, v9, v0
	s_wait_alu 0xfffd
	v_cndmask_b32_e64 v10, 0, 1, vcc_lo
	v_cmp_ne_u32_e32 vcc_lo, v8, v19
	v_sub_nc_u32_e32 v9, 0x3f1, v20
	v_or_b32_e32 v19, 0x1000, v0
	s_delay_alu instid0(VALU_DEP_4)
	v_lshl_or_b32 v10, v10, 9, 0x7c00
	s_wait_alu 0xfffd
	v_cndmask_b32_e64 v8, 0, 1, vcc_lo
	v_med3_i32 v21, v9, 0, 13
	v_cmp_eq_u32_e32 vcc_lo, 0x40f, v16
	v_mul_f64_e32 v[12:13], s[6:7], v[12:13]
	s_delay_alu instid0(VALU_DEP_4)
	v_or_b32_e32 v22, v22, v8
	v_cvt_f64_f32_e32 v[8:9], v2
	v_lshrrev_b32_e32 v24, v21, v19
	v_lshl_or_b32 v2, v18, 12, v6
	s_wait_alu 0xfffd
	v_cndmask_b32_e32 v10, v17, v10, vcc_lo
	v_cmp_gt_i32_e32 vcc_lo, 1, v18
	v_add_nc_u32_e32 v17, 0xfffffc10, v20
	v_lshlrev_b32_e32 v16, v21, v24
	s_delay_alu instid0(VALU_DEP_4) | instskip(SKIP_2) | instid1(VALU_DEP_3)
	v_and_or_b32 v10, 0x8000, v11, v10
	s_wait_alu 0xfffd
	v_dual_cndmask_b32 v2, v2, v22 :: v_dual_and_b32 v11, 0xffff, v23
	v_cmp_ne_u32_e32 vcc_lo, v16, v19
	v_cmp_gt_i32_e64 s1, 1, v17
	s_delay_alu instid0(VALU_DEP_3) | instskip(NEXT) | instid1(VALU_DEP_4)
	v_and_b32_e32 v15, 7, v2
	v_lshl_or_b32 v19, v10, 16, v11
	s_wait_alu 0xfffd
	v_cndmask_b32_e64 v16, 0, 1, vcc_lo
	v_add_co_u32 v4, vcc_lo, v4, s2
	s_wait_alu 0xfffd
	v_add_co_ci_u32_e32 v5, vcc_lo, s3, v5, vcc_lo
	s_delay_alu instid0(VALU_DEP_3)
	v_or_b32_e32 v10, v24, v16
	v_lshl_or_b32 v11, v17, 12, v0
	v_lshrrev_b32_e32 v16, 16, v3
	v_cmp_lt_i32_e32 vcc_lo, 5, v15
	v_cmp_eq_u32_e64 s0, 3, v15
	v_lshrrev_b32_e32 v2, 2, v2
	s_wait_alu 0xf1ff
	v_cndmask_b32_e64 v15, v11, v10, s1
	v_mul_f16_e32 v10, v41, v16
	s_or_b32 vcc_lo, s0, vcc_lo
	s_wait_alu 0xfffe
	v_add_co_ci_u32_e32 v2, vcc_lo, 0, v2, vcc_lo
	v_cmp_ne_u32_e32 vcc_lo, 0, v6
	v_fmac_f16_e32 v10, v40, v3
	v_and_or_b32 v12, 0x1ff, v13, v12
	v_and_b32_e32 v11, 7, v15
	v_mul_f64_e32 v[8:9], s[6:7], v[8:9]
	s_wait_alu 0xfffd
	v_cndmask_b32_e64 v6, 0, 1, vcc_lo
	v_cmp_gt_i32_e32 vcc_lo, 31, v18
	v_cmp_ne_u32_e64 s1, 0, v12
	v_cvt_f32_f16_e32 v10, v10
	v_cmp_eq_u32_e64 s0, 3, v11
	v_lshl_or_b32 v6, v6, 9, 0x7c00
	s_wait_alu 0xfffd
	v_cndmask_b32_e32 v2, 0x7c00, v2, vcc_lo
	s_wait_alu 0xf1ff
	v_cndmask_b32_e64 v12, 0, 1, s1
	v_cmp_eq_u32_e64 s1, 0x40f, v18
	v_cmp_lt_i32_e32 vcc_lo, 5, v11
	v_cvt_f64_f32_e32 v[10:11], v10
	v_lshrrev_b32_e32 v20, 8, v13
	v_bfe_u32 v21, v13, 20, 11
	s_wait_alu 0xf1ff
	v_cndmask_b32_e64 v2, v2, v6, s1
	v_lshrrev_b32_e32 v6, 2, v15
	s_or_b32 vcc_lo, s0, vcc_lo
	v_and_or_b32 v12, 0xffe, v20, v12
	v_sub_nc_u32_e32 v15, 0x3f1, v21
	v_lshrrev_b32_e32 v20, 16, v7
	s_wait_alu 0xfffe
	v_add_co_ci_u32_e32 v6, vcc_lo, 0, v6, vcc_lo
	v_cmp_ne_u32_e32 vcc_lo, 0, v0
	v_or_b32_e32 v18, 0x1000, v12
	v_med3_i32 v15, v15, 0, 13
	v_and_or_b32 v20, 0x8000, v20, v2
	v_lshrrev_b32_e32 v13, 16, v13
	s_wait_alu 0xfffd
	v_cndmask_b32_e64 v0, 0, 1, vcc_lo
	v_cmp_gt_i32_e32 vcc_lo, 31, v17
	v_lshrrev_b32_e32 v23, v15, v18
	s_delay_alu instid0(VALU_DEP_3)
	v_lshl_or_b32 v0, v0, 9, 0x7c00
	s_wait_alu 0xfffd
	v_cndmask_b32_e32 v22, 0x7c00, v6, vcc_lo
	v_add_co_u32 v6, vcc_lo, v4, s2
	s_wait_alu 0xfffd
	v_add_co_ci_u32_e32 v7, vcc_lo, s3, v5, vcc_lo
	v_lshlrev_b32_e32 v2, v15, v23
	v_cmp_eq_u32_e32 vcc_lo, 0x40f, v17
	s_wait_alu 0xfffd
	v_cndmask_b32_e32 v15, v22, v0, vcc_lo
	v_and_or_b32 v0, 0x1ff, v9, v8
	v_cmp_ne_u32_e32 vcc_lo, v2, v18
	v_mul_f16_e32 v2, v41, v3
	v_lshrrev_b32_e32 v8, 16, v1
	v_lshrrev_b32_e32 v18, 8, v9
	v_bfe_u32 v22, v9, 20, 11
	s_wait_alu 0xfffd
	v_cndmask_b32_e64 v17, 0, 1, vcc_lo
	v_cmp_ne_u32_e32 vcc_lo, 0, v0
	v_mul_f64_e32 v[0:1], s[6:7], v[10:11]
	v_fma_f16 v2, v40, v16, -v2
	v_add_nc_u32_e32 v10, 0x1600, v37
	v_add_nc_u32_e32 v16, 0xfffffc10, v21
	s_wait_alu 0xfffd
	v_cndmask_b32_e64 v3, 0, 1, vcc_lo
	v_sub_nc_u32_e32 v21, 0x3f1, v22
	v_cvt_f32_f16_e32 v11, v2
	v_or_b32_e32 v17, v23, v17
	v_lshl_or_b32 v23, v16, 12, v12
	v_and_or_b32 v18, 0xffe, v18, v3
	ds_load_2addr_b32 v[2:3], v10 offset0:32 offset1:212
	v_med3_i32 v21, v21, 0, 13
	v_and_or_b32 v8, 0x8000, v8, v15
	v_and_b32_e32 v15, 0xffff, v20
	v_or_b32_e32 v24, 0x1000, v18
	v_cmp_gt_i32_e32 vcc_lo, 1, v16
	s_clause 0x1
	global_store_b32 v[4:5], v14, off
	global_store_b32 v[6:7], v19, off
	v_cvt_f64_f32_e32 v[10:11], v11
	v_lshl_or_b32 v14, v8, 16, v15
	v_lshrrev_b32_e32 v20, v21, v24
	s_wait_alu 0xfffd
	v_cndmask_b32_e32 v17, v23, v17, vcc_lo
	v_add_co_u32 v4, vcc_lo, v6, s2
	s_wait_alu 0xfffd
	v_add_co_ci_u32_e32 v5, vcc_lo, s3, v7, vcc_lo
	v_lshlrev_b32_e32 v15, v21, v20
	v_and_b32_e32 v8, 7, v17
	v_cmp_eq_u32_e64 s1, 0x40f, v16
	v_lshrrev_b32_e32 v9, 16, v9
	s_wait_dscnt 0x0
	v_lshrrev_b32_e32 v19, 16, v2
	v_cmp_ne_u32_e64 s0, v15, v24
	v_cmp_lt_i32_e32 vcc_lo, 5, v8
	v_add_nc_u32_e32 v15, 0xfffffc10, v22
	s_delay_alu instid0(VALU_DEP_4)
	v_mul_f16_e32 v7, v39, v19
	s_wait_alu 0xf1ff
	v_cndmask_b32_e64 v6, 0, 1, s0
	v_cmp_eq_u32_e64 s0, 3, v8
	v_lshrrev_b32_e32 v8, 2, v17
	v_lshl_or_b32 v17, v15, 12, v18
	v_fmac_f16_e32 v7, v38, v2
	v_or_b32_e32 v6, v20, v6
	s_or_b32 vcc_lo, s0, vcc_lo
	v_and_or_b32 v0, 0x1ff, v1, v0
	s_wait_alu 0xfffe
	v_add_co_ci_u32_e32 v8, vcc_lo, 0, v8, vcc_lo
	v_cvt_f32_f16_e32 v7, v7
	v_cmp_gt_i32_e32 vcc_lo, 1, v15
	v_lshrrev_b32_e32 v20, 8, v1
	v_bfe_u32 v21, v1, 20, 11
	v_mul_f16_e32 v2, v39, v2
	s_wait_alu 0xfffd
	v_cndmask_b32_e32 v17, v17, v6, vcc_lo
	v_cvt_f64_f32_e32 v[6:7], v7
	v_cmp_ne_u32_e32 vcc_lo, 0, v0
	v_mul_f64_e32 v[10:11], s[6:7], v[10:11]
	v_fma_f16 v2, v38, v19, -v2
	v_and_b32_e32 v22, 7, v17
	v_lshrrev_b32_e32 v17, 2, v17
	s_wait_alu 0xfffd
	v_cndmask_b32_e64 v0, 0, 1, vcc_lo
	v_cmp_ne_u32_e32 vcc_lo, 0, v12
	v_cvt_f32_f16_e32 v2, v2
	v_cmp_eq_u32_e64 s0, 3, v22
	s_delay_alu instid0(VALU_DEP_4)
	v_and_or_b32 v0, 0xffe, v20, v0
	s_wait_alu 0xfffd
	v_cndmask_b32_e64 v12, 0, 1, vcc_lo
	v_cmp_gt_i32_e32 vcc_lo, 31, v16
	v_sub_nc_u32_e32 v20, 0x3f1, v21
	v_or_b32_e32 v23, 0x1000, v0
	s_delay_alu instid0(VALU_DEP_4) | instskip(SKIP_4) | instid1(VALU_DEP_3)
	v_lshl_or_b32 v12, v12, 9, 0x7c00
	s_wait_alu 0xfffd
	v_cndmask_b32_e32 v8, 0x7c00, v8, vcc_lo
	v_cmp_lt_i32_e32 vcc_lo, 5, v22
	v_med3_i32 v20, v20, 0, 13
	v_cndmask_b32_e64 v8, v8, v12, s1
	s_or_b32 vcc_lo, s0, vcc_lo
	s_delay_alu instid0(VALU_DEP_2)
	v_lshrrev_b32_e32 v12, v20, v23
	s_wait_alu 0xfffe
	v_add_co_ci_u32_e32 v16, vcc_lo, 0, v17, vcc_lo
	v_cmp_ne_u32_e32 vcc_lo, 0, v18
	v_and_or_b32 v13, 0x8000, v13, v8
	v_lshlrev_b32_e32 v18, v20, v12
	v_add_nc_u32_e32 v20, 0xfffffc10, v21
	s_wait_alu 0xfffd
	v_cndmask_b32_e64 v17, 0, 1, vcc_lo
	v_cmp_gt_i32_e32 vcc_lo, 31, v15
	v_and_b32_e32 v13, 0xffff, v13
	v_mul_f64_e32 v[6:7], s[6:7], v[6:7]
	s_wait_alu 0xfffd
	v_cndmask_b32_e32 v16, 0x7c00, v16, vcc_lo
	v_cmp_ne_u32_e32 vcc_lo, v18, v23
	v_lshl_or_b32 v17, v17, 9, 0x7c00
	v_and_or_b32 v10, 0x1ff, v11, v10
	s_wait_alu 0xfffd
	v_cndmask_b32_e64 v18, 0, 1, vcc_lo
	v_cmp_eq_u32_e32 vcc_lo, 0x40f, v15
	v_lshl_or_b32 v15, v20, 12, v0
	s_delay_alu instid0(VALU_DEP_3)
	v_or_b32_e32 v12, v12, v18
	v_bfe_u32 v22, v7, 20, 11
	s_wait_alu 0xfffd
	v_cndmask_b32_e32 v8, v16, v17, vcc_lo
	v_cmp_gt_i32_e32 vcc_lo, 1, v20
	v_bfe_u32 v16, v11, 20, 11
	v_and_or_b32 v6, 0x1ff, v7, v6
	s_delay_alu instid0(VALU_DEP_4)
	v_and_or_b32 v17, 0x8000, v9, v8
	s_wait_alu 0xfffd
	v_cndmask_b32_e32 v12, v15, v12, vcc_lo
	v_cmp_ne_u32_e32 vcc_lo, 0, v10
	v_lshrrev_b32_e32 v15, 8, v11
	v_cvt_f64_f32_e32 v[8:9], v2
	v_sub_nc_u32_e32 v2, 0x3f1, v16
	v_and_b32_e32 v18, 7, v12
	s_wait_alu 0xfffd
	v_cndmask_b32_e64 v10, 0, 1, vcc_lo
	v_lshrrev_b32_e32 v12, 2, v12
	v_lshl_or_b32 v17, v17, 16, v13
	v_med3_i32 v2, v2, 0, 13
	v_cmp_lt_i32_e32 vcc_lo, 5, v18
	v_and_or_b32 v10, 0xffe, v15, v10
	v_lshrrev_b32_e32 v15, 16, v3
	v_cmp_eq_u32_e64 s0, 3, v18
	v_add_nc_u32_e32 v16, 0xfffffc10, v16
	v_lshrrev_b32_e32 v11, 16, v11
	v_or_b32_e32 v19, 0x1000, v10
	v_mul_f16_e32 v21, v36, v15
	s_or_b32 vcc_lo, s0, vcc_lo
	v_lshl_or_b32 v23, v16, 12, v10
	s_wait_alu 0xfffe
	v_add_co_ci_u32_e32 v12, vcc_lo, 0, v12, vcc_lo
	v_lshrrev_b32_e32 v18, v2, v19
	v_cmp_ne_u32_e32 vcc_lo, 0, v0
	v_fmac_f16_e32 v21, v35, v3
	v_mul_f16_e32 v3, v36, v3
	s_delay_alu instid0(VALU_DEP_4)
	v_lshlrev_b32_e32 v2, v2, v18
	s_wait_alu 0xfffd
	v_cndmask_b32_e64 v0, 0, 1, vcc_lo
	v_cmp_gt_i32_e32 vcc_lo, 31, v20
	v_cvt_f32_f16_e32 v13, v21
	v_fma_f16 v15, v35, v15, -v3
	s_delay_alu instid0(VALU_DEP_4)
	v_lshl_or_b32 v0, v0, 9, 0x7c00
	s_wait_alu 0xfffd
	v_cndmask_b32_e32 v21, 0x7c00, v12, vcc_lo
	v_cmp_ne_u32_e32 vcc_lo, v2, v19
	v_cvt_f64_f32_e32 v[12:13], v13
	v_lshrrev_b32_e32 v19, 8, v7
	v_lshrrev_b32_e32 v7, 16, v7
	s_wait_alu 0xfffd
	v_cndmask_b32_e64 v2, 0, 1, vcc_lo
	v_cmp_ne_u32_e32 vcc_lo, 0, v6
	s_delay_alu instid0(VALU_DEP_2)
	v_or_b32_e32 v18, v18, v2
	s_wait_alu 0xfffd
	v_cndmask_b32_e64 v6, 0, 1, vcc_lo
	v_cmp_gt_i32_e32 vcc_lo, 1, v16
	v_mul_f64_e32 v[2:3], s[6:7], v[8:9]
	v_sub_nc_u32_e32 v8, 0x3f1, v22
	v_cvt_f32_f16_e32 v9, v15
	v_and_or_b32 v6, 0xffe, v19, v6
	s_wait_alu 0xfffd
	v_cndmask_b32_e32 v15, v23, v18, vcc_lo
	v_cmp_eq_u32_e32 vcc_lo, 0x40f, v20
	v_med3_i32 v19, v8, 0, 13
	v_cvt_f64_f32_e32 v[8:9], v9
	v_or_b32_e32 v18, 0x1000, v6
	s_wait_alu 0xfffd
	v_dual_cndmask_b32 v20, v21, v0 :: v_dual_and_b32 v23, 7, v15
	v_add_co_u32 v0, vcc_lo, v4, s2
	s_delay_alu instid0(VALU_DEP_3)
	v_lshrrev_b32_e32 v24, v19, v18
	v_lshrrev_b32_e32 v21, 16, v1
	s_wait_alu 0xfffd
	v_add_co_ci_u32_e32 v1, vcc_lo, s3, v5, vcc_lo
	v_cmp_lt_i32_e32 vcc_lo, 5, v23
	v_cmp_eq_u32_e64 s0, 3, v23
	v_lshrrev_b32_e32 v15, 2, v15
	v_lshlrev_b32_e32 v19, v19, v24
	v_and_or_b32 v20, 0x8000, v21, v20
	s_delay_alu instid0(VALU_DEP_4)
	s_or_b32 vcc_lo, s0, vcc_lo
	s_wait_alu 0xfffe
	v_add_co_ci_u32_e32 v15, vcc_lo, 0, v15, vcc_lo
	v_cmp_ne_u32_e64 s1, v19, v18
	v_cmp_ne_u32_e32 vcc_lo, 0, v10
	v_add_nc_u32_e32 v19, 0xfffffc10, v22
	v_mul_f64_e32 v[12:13], s[6:7], v[12:13]
	s_wait_alu 0xf1ff
	v_cndmask_b32_e64 v18, 0, 1, s1
	s_wait_alu 0xfffd
	v_cndmask_b32_e64 v10, 0, 1, vcc_lo
	v_cmp_gt_i32_e32 vcc_lo, 31, v16
	v_lshl_or_b32 v21, v19, 12, v6
	v_or_b32_e32 v18, v24, v18
	s_delay_alu instid0(VALU_DEP_4)
	v_lshl_or_b32 v10, v10, 9, 0x7c00
	s_wait_alu 0xfffd
	v_cndmask_b32_e32 v15, 0x7c00, v15, vcc_lo
	v_cmp_gt_i32_e32 vcc_lo, 1, v19
	v_and_or_b32 v2, 0x1ff, v3, v2
	s_wait_alu 0xfffd
	v_cndmask_b32_e32 v18, v21, v18, vcc_lo
	v_cmp_eq_u32_e32 vcc_lo, 0x40f, v16
	v_lshrrev_b32_e32 v16, 8, v3
	v_mul_f64_e32 v[8:9], s[6:7], v[8:9]
	v_bfe_u32 v21, v3, 20, 11
	v_lshrrev_b32_e32 v3, 16, v3
	s_wait_alu 0xfffd
	v_cndmask_b32_e32 v10, v15, v10, vcc_lo
	v_cmp_ne_u32_e32 vcc_lo, 0, v2
	s_delay_alu instid0(VALU_DEP_2) | instskip(SKIP_4) | instid1(VALU_DEP_3)
	v_and_or_b32 v10, 0x8000, v11, v10
	v_and_b32_e32 v11, 0xffff, v20
	v_and_b32_e32 v15, 7, v18
	s_wait_alu 0xfffd
	v_cndmask_b32_e64 v2, 0, 1, vcc_lo
	v_lshl_or_b32 v10, v10, 16, v11
	s_delay_alu instid0(VALU_DEP_3)
	v_cmp_lt_i32_e32 vcc_lo, 5, v15
	v_cmp_eq_u32_e64 s0, 3, v15
	v_lshrrev_b32_e32 v11, 2, v18
	v_and_or_b32 v2, 0xffe, v16, v2
	v_sub_nc_u32_e32 v16, 0x3f1, v21
	v_and_or_b32 v12, 0x1ff, v13, v12
	s_or_b32 vcc_lo, s0, vcc_lo
	v_lshrrev_b32_e32 v20, 8, v13
	s_wait_alu 0xfffe
	v_add_co_ci_u32_e32 v11, vcc_lo, 0, v11, vcc_lo
	v_or_b32_e32 v15, 0x1000, v2
	v_med3_i32 v16, v16, 0, 13
	v_cmp_ne_u32_e32 vcc_lo, 0, v6
	v_bfe_u32 v22, v13, 20, 11
	s_delay_alu instid0(VALU_DEP_3) | instskip(SKIP_3) | instid1(VALU_DEP_3)
	v_lshrrev_b32_e32 v18, v16, v15
	s_wait_alu 0xfffd
	v_cndmask_b32_e64 v6, 0, 1, vcc_lo
	v_cmp_gt_i32_e32 vcc_lo, 31, v19
	v_lshlrev_b32_e32 v16, v16, v18
	s_delay_alu instid0(VALU_DEP_3)
	v_lshl_or_b32 v6, v6, 9, 0x7c00
	s_wait_alu 0xfffd
	v_cndmask_b32_e32 v11, 0x7c00, v11, vcc_lo
	v_cmp_ne_u32_e32 vcc_lo, 0, v12
	v_and_or_b32 v8, 0x1ff, v9, v8
	s_wait_alu 0xfffd
	v_cndmask_b32_e64 v12, 0, 1, vcc_lo
	v_cmp_ne_u32_e32 vcc_lo, v16, v15
	v_add_nc_u32_e32 v16, 0xfffffc10, v21
	v_bfe_u32 v21, v9, 20, 11
	s_delay_alu instid0(VALU_DEP_4) | instskip(SKIP_4) | instid1(VALU_DEP_2)
	v_and_or_b32 v12, 0xffe, v20, v12
	s_wait_alu 0xfffd
	v_cndmask_b32_e64 v15, 0, 1, vcc_lo
	v_sub_nc_u32_e32 v20, 0x3f1, v22
	v_cmp_eq_u32_e32 vcc_lo, 0x40f, v19
	v_med3_i32 v19, v20, 0, 13
	s_wait_alu 0xfffd
	v_cndmask_b32_e32 v6, v11, v6, vcc_lo
	v_or_b32_e32 v11, v18, v15
	v_lshl_or_b32 v15, v16, 12, v2
	v_or_b32_e32 v18, 0x1000, v12
	v_cmp_gt_i32_e32 vcc_lo, 1, v16
	v_lshrrev_b32_e32 v20, 8, v9
	v_and_or_b32 v6, 0x8000, v7, v6
	s_wait_alu 0xfffd
	v_cndmask_b32_e32 v11, v15, v11, vcc_lo
	v_lshrrev_b32_e32 v15, v19, v18
	v_cmp_ne_u32_e32 vcc_lo, 0, v8
	v_and_b32_e32 v6, 0xffff, v6
	s_delay_alu instid0(VALU_DEP_4) | instskip(NEXT) | instid1(VALU_DEP_4)
	v_and_b32_e32 v23, 7, v11
	v_lshlrev_b32_e32 v19, v19, v15
	s_wait_alu 0xfffd
	v_cndmask_b32_e64 v8, 0, 1, vcc_lo
	v_lshrrev_b32_e32 v11, 2, v11
	v_cmp_lt_i32_e32 vcc_lo, 5, v23
	v_cmp_ne_u32_e64 s0, v19, v18
	s_delay_alu instid0(VALU_DEP_4)
	v_and_or_b32 v7, 0xffe, v20, v8
	v_sub_nc_u32_e32 v8, 0x3f1, v21
	v_add_nc_u32_e32 v20, 0xfffffc10, v22
	s_wait_alu 0xf1ff
	v_cndmask_b32_e64 v18, 0, 1, s0
	v_cmp_eq_u32_e64 s0, 3, v23
	v_or_b32_e32 v19, 0x1000, v7
	v_med3_i32 v8, v8, 0, 13
	v_lshl_or_b32 v22, v20, 12, v12
	v_or_b32_e32 v15, v15, v18
	s_or_b32 vcc_lo, s0, vcc_lo
	s_wait_alu 0xfffe
	v_add_co_ci_u32_e32 v11, vcc_lo, 0, v11, vcc_lo
	v_lshrrev_b32_e32 v18, v8, v19
	v_cmp_gt_i32_e32 vcc_lo, 1, v20
	s_wait_alu 0xfffd
	s_delay_alu instid0(VALU_DEP_2) | instskip(SKIP_3) | instid1(VALU_DEP_3)
	v_dual_cndmask_b32 v15, v22, v15 :: v_dual_lshlrev_b32 v8, v8, v18
	v_cmp_ne_u32_e32 vcc_lo, 0, v2
	s_wait_alu 0xfffd
	v_cndmask_b32_e64 v2, 0, 1, vcc_lo
	v_cmp_ne_u32_e32 vcc_lo, v8, v19
	v_add_nc_u32_e32 v19, 0xfffffc10, v21
	v_and_b32_e32 v21, 7, v15
	s_delay_alu instid0(VALU_DEP_4)
	v_lshl_or_b32 v2, v2, 9, 0x7c00
	s_wait_alu 0xfffd
	v_cndmask_b32_e64 v8, 0, 1, vcc_lo
	v_cmp_gt_i32_e32 vcc_lo, 31, v16
	v_cmp_gt_i32_e64 s1, 1, v19
	v_cmp_eq_u32_e64 s0, 3, v21
	s_delay_alu instid0(VALU_DEP_4)
	v_or_b32_e32 v8, v18, v8
	v_lshl_or_b32 v18, v19, 12, v7
	s_wait_alu 0xfffd
	v_cndmask_b32_e32 v11, 0x7c00, v11, vcc_lo
	v_cmp_lt_i32_e32 vcc_lo, 5, v21
	s_wait_alu 0xf1ff
	v_cndmask_b32_e64 v8, v18, v8, s1
	v_cmp_eq_u32_e64 s1, 0x40f, v16
	s_or_b32 vcc_lo, s0, vcc_lo
	s_delay_alu instid0(VALU_DEP_1)
	v_cndmask_b32_e64 v2, v11, v2, s1
	v_lshrrev_b32_e32 v11, 2, v15
	v_and_b32_e32 v15, 7, v8
	v_lshrrev_b32_e32 v8, 2, v8
	v_cmp_gt_i32_e64 s1, 31, v20
	s_wait_alu 0xfffe
	v_add_co_ci_u32_e32 v11, vcc_lo, 0, v11, vcc_lo
	v_cmp_ne_u32_e32 vcc_lo, 0, v12
	v_cmp_eq_u32_e64 s0, 3, v15
	s_wait_alu 0xf1ff
	s_delay_alu instid0(VALU_DEP_3) | instskip(SKIP_3) | instid1(VALU_DEP_2)
	v_cndmask_b32_e64 v11, 0x7c00, v11, s1
	s_wait_alu 0xfffd
	v_cndmask_b32_e64 v12, 0, 1, vcc_lo
	v_cmp_lt_i32_e32 vcc_lo, 5, v15
	v_lshl_or_b32 v12, v12, 9, 0x7c00
	s_or_b32 vcc_lo, s0, vcc_lo
	s_wait_alu 0xfffe
	v_add_co_ci_u32_e32 v8, vcc_lo, 0, v8, vcc_lo
	v_cmp_ne_u32_e32 vcc_lo, 0, v7
	s_wait_alu 0xfffd
	v_cndmask_b32_e64 v7, 0, 1, vcc_lo
	v_cmp_eq_u32_e32 vcc_lo, 0x40f, v20
	s_delay_alu instid0(VALU_DEP_2)
	v_lshl_or_b32 v7, v7, 9, 0x7c00
	s_wait_alu 0xfffd
	v_cndmask_b32_e32 v11, v11, v12, vcc_lo
	v_cmp_gt_i32_e32 vcc_lo, 31, v19
	v_lshrrev_b32_e32 v12, 16, v13
	v_and_or_b32 v13, 0x8000, v3, v2
	s_wait_alu 0xfffd
	v_cndmask_b32_e32 v8, 0x7c00, v8, vcc_lo
	v_cmp_eq_u32_e32 vcc_lo, 0x40f, v19
	v_and_or_b32 v11, 0x8000, v12, v11
	v_lshl_or_b32 v12, v13, 16, v6
	s_wait_alu 0xfffd
	v_cndmask_b32_e32 v7, v8, v7, vcc_lo
	v_lshrrev_b32_e32 v8, 16, v9
	v_and_b32_e32 v9, 0xffff, v11
	v_add_co_u32 v2, vcc_lo, v0, s2
	s_wait_alu 0xfffd
	v_add_co_ci_u32_e32 v3, vcc_lo, s3, v1, vcc_lo
	v_and_or_b32 v8, 0x8000, v8, v7
	s_delay_alu instid0(VALU_DEP_3) | instskip(SKIP_1) | instid1(VALU_DEP_3)
	v_add_co_u32 v6, vcc_lo, v2, s2
	s_wait_alu 0xfffd
	v_add_co_ci_u32_e32 v7, vcc_lo, s3, v3, vcc_lo
	s_delay_alu instid0(VALU_DEP_3) | instskip(NEXT) | instid1(VALU_DEP_3)
	v_lshl_or_b32 v11, v8, 16, v9
	v_add_co_u32 v8, vcc_lo, v6, s2
	s_wait_alu 0xfffd
	s_delay_alu instid0(VALU_DEP_3)
	v_add_co_ci_u32_e32 v9, vcc_lo, s3, v7, vcc_lo
	global_store_b32 v[4:5], v14, off
	global_store_b32 v[0:1], v17, off
	;; [unrolled: 1-line block ×5, first 2 shown]
.LBB0_18:
	s_nop 0
	s_sendmsg sendmsg(MSG_DEALLOC_VGPRS)
	s_endpgm
	.section	.rodata,"a",@progbits
	.p2align	6, 0x0
	.amdhsa_kernel bluestein_single_fwd_len1800_dim1_half_op_CI_CI
		.amdhsa_group_segment_fixed_size 7200
		.amdhsa_private_segment_fixed_size 0
		.amdhsa_kernarg_size 104
		.amdhsa_user_sgpr_count 2
		.amdhsa_user_sgpr_dispatch_ptr 0
		.amdhsa_user_sgpr_queue_ptr 0
		.amdhsa_user_sgpr_kernarg_segment_ptr 1
		.amdhsa_user_sgpr_dispatch_id 0
		.amdhsa_user_sgpr_private_segment_size 0
		.amdhsa_wavefront_size32 1
		.amdhsa_uses_dynamic_stack 0
		.amdhsa_enable_private_segment 0
		.amdhsa_system_sgpr_workgroup_id_x 1
		.amdhsa_system_sgpr_workgroup_id_y 0
		.amdhsa_system_sgpr_workgroup_id_z 0
		.amdhsa_system_sgpr_workgroup_info 0
		.amdhsa_system_vgpr_workitem_id 0
		.amdhsa_next_free_vgpr 130
		.amdhsa_next_free_sgpr 20
		.amdhsa_reserve_vcc 1
		.amdhsa_float_round_mode_32 0
		.amdhsa_float_round_mode_16_64 0
		.amdhsa_float_denorm_mode_32 3
		.amdhsa_float_denorm_mode_16_64 3
		.amdhsa_fp16_overflow 0
		.amdhsa_workgroup_processor_mode 1
		.amdhsa_memory_ordered 1
		.amdhsa_forward_progress 0
		.amdhsa_round_robin_scheduling 0
		.amdhsa_exception_fp_ieee_invalid_op 0
		.amdhsa_exception_fp_denorm_src 0
		.amdhsa_exception_fp_ieee_div_zero 0
		.amdhsa_exception_fp_ieee_overflow 0
		.amdhsa_exception_fp_ieee_underflow 0
		.amdhsa_exception_fp_ieee_inexact 0
		.amdhsa_exception_int_div_zero 0
	.end_amdhsa_kernel
	.text
.Lfunc_end0:
	.size	bluestein_single_fwd_len1800_dim1_half_op_CI_CI, .Lfunc_end0-bluestein_single_fwd_len1800_dim1_half_op_CI_CI
                                        ; -- End function
	.section	.AMDGPU.csdata,"",@progbits
; Kernel info:
; codeLenInByte = 18056
; NumSgprs: 22
; NumVgprs: 130
; ScratchSize: 0
; MemoryBound: 0
; FloatMode: 240
; IeeeMode: 1
; LDSByteSize: 7200 bytes/workgroup (compile time only)
; SGPRBlocks: 2
; VGPRBlocks: 16
; NumSGPRsForWavesPerEU: 22
; NumVGPRsForWavesPerEU: 130
; Occupancy: 10
; WaveLimiterHint : 1
; COMPUTE_PGM_RSRC2:SCRATCH_EN: 0
; COMPUTE_PGM_RSRC2:USER_SGPR: 2
; COMPUTE_PGM_RSRC2:TRAP_HANDLER: 0
; COMPUTE_PGM_RSRC2:TGID_X_EN: 1
; COMPUTE_PGM_RSRC2:TGID_Y_EN: 0
; COMPUTE_PGM_RSRC2:TGID_Z_EN: 0
; COMPUTE_PGM_RSRC2:TIDIG_COMP_CNT: 0
	.text
	.p2alignl 7, 3214868480
	.fill 96, 4, 3214868480
	.type	__hip_cuid_a453e8ebfe9d21fd,@object ; @__hip_cuid_a453e8ebfe9d21fd
	.section	.bss,"aw",@nobits
	.globl	__hip_cuid_a453e8ebfe9d21fd
__hip_cuid_a453e8ebfe9d21fd:
	.byte	0                               ; 0x0
	.size	__hip_cuid_a453e8ebfe9d21fd, 1

	.ident	"AMD clang version 19.0.0git (https://github.com/RadeonOpenCompute/llvm-project roc-6.4.0 25133 c7fe45cf4b819c5991fe208aaa96edf142730f1d)"
	.section	".note.GNU-stack","",@progbits
	.addrsig
	.addrsig_sym __hip_cuid_a453e8ebfe9d21fd
	.amdgpu_metadata
---
amdhsa.kernels:
  - .args:
      - .actual_access:  read_only
        .address_space:  global
        .offset:         0
        .size:           8
        .value_kind:     global_buffer
      - .actual_access:  read_only
        .address_space:  global
        .offset:         8
        .size:           8
        .value_kind:     global_buffer
      - .actual_access:  read_only
        .address_space:  global
        .offset:         16
        .size:           8
        .value_kind:     global_buffer
      - .actual_access:  read_only
        .address_space:  global
        .offset:         24
        .size:           8
        .value_kind:     global_buffer
      - .actual_access:  read_only
        .address_space:  global
        .offset:         32
        .size:           8
        .value_kind:     global_buffer
      - .offset:         40
        .size:           8
        .value_kind:     by_value
      - .address_space:  global
        .offset:         48
        .size:           8
        .value_kind:     global_buffer
      - .address_space:  global
        .offset:         56
        .size:           8
        .value_kind:     global_buffer
      - .address_space:  global
        .offset:         64
        .size:           8
        .value_kind:     global_buffer
      - .address_space:  global
        .offset:         72
        .size:           8
        .value_kind:     global_buffer
      - .offset:         80
        .size:           4
        .value_kind:     by_value
      - .address_space:  global
        .offset:         88
        .size:           8
        .value_kind:     global_buffer
      - .address_space:  global
        .offset:         96
        .size:           8
        .value_kind:     global_buffer
    .group_segment_fixed_size: 7200
    .kernarg_segment_align: 8
    .kernarg_segment_size: 104
    .language:       OpenCL C
    .language_version:
      - 2
      - 0
    .max_flat_workgroup_size: 180
    .name:           bluestein_single_fwd_len1800_dim1_half_op_CI_CI
    .private_segment_fixed_size: 0
    .sgpr_count:     22
    .sgpr_spill_count: 0
    .symbol:         bluestein_single_fwd_len1800_dim1_half_op_CI_CI.kd
    .uniform_work_group_size: 1
    .uses_dynamic_stack: false
    .vgpr_count:     130
    .vgpr_spill_count: 0
    .wavefront_size: 32
    .workgroup_processor_mode: 1
amdhsa.target:   amdgcn-amd-amdhsa--gfx1201
amdhsa.version:
  - 1
  - 2
...

	.end_amdgpu_metadata
